;; amdgpu-corpus repo=ROCm/rocFFT kind=compiled arch=gfx950 opt=O3
	.text
	.amdgcn_target "amdgcn-amd-amdhsa--gfx950"
	.amdhsa_code_object_version 6
	.protected	bluestein_single_back_len612_dim1_dp_op_CI_CI ; -- Begin function bluestein_single_back_len612_dim1_dp_op_CI_CI
	.globl	bluestein_single_back_len612_dim1_dp_op_CI_CI
	.p2align	8
	.type	bluestein_single_back_len612_dim1_dp_op_CI_CI,@function
bluestein_single_back_len612_dim1_dp_op_CI_CI: ; @bluestein_single_back_len612_dim1_dp_op_CI_CI
; %bb.0:
	s_load_dwordx4 s[8:11], s[0:1], 0x28
	v_mul_u32_u24_e32 v1, 0x506, v0
	v_add_u32_sdwa v156, s2, v1 dst_sel:DWORD dst_unused:UNUSED_PAD src0_sel:DWORD src1_sel:WORD_1
	v_mov_b32_e32 v157, 0
	s_waitcnt lgkmcnt(0)
	v_cmp_gt_u64_e32 vcc, s[8:9], v[156:157]
	s_and_saveexec_b64 s[2:3], vcc
	s_cbranch_execz .LBB0_15
; %bb.1:
	s_load_dwordx2 s[8:9], s[0:1], 0x0
	s_load_dwordx2 s[12:13], s[0:1], 0x38
	v_mov_b32_e32 v2, 51
	v_mul_lo_u16_sdwa v1, v1, v2 dst_sel:DWORD dst_unused:UNUSED_PAD src0_sel:WORD_1 src1_sel:DWORD
	v_sub_u16_e32 v222, v0, v1
	v_cmp_gt_u16_e32 vcc, 36, v222
	v_lshlrev_b32_e32 v198, 4, v222
	s_and_saveexec_b64 s[14:15], vcc
	s_cbranch_execz .LBB0_3
; %bb.2:
	s_load_dwordx2 s[2:3], s[0:1], 0x18
	v_mov_b32_e32 v0, s10
	v_mov_b32_e32 v1, s11
	;; [unrolled: 1-line block ×3, first 2 shown]
	s_waitcnt lgkmcnt(0)
	v_lshl_add_u64 v[134:135], s[8:9], 0, v[198:199]
	s_load_dwordx4 s[4:7], s[2:3], 0x0
	v_mov_b32_e32 v40, 0x240
	v_or_b32_e32 v141, 0x240, v222
	v_lshlrev_b32_e32 v41, 4, v141
	s_waitcnt lgkmcnt(0)
	v_mad_u64_u32 v[2:3], s[2:3], s6, v156, 0
	v_mad_u64_u32 v[4:5], s[2:3], s4, v222, 0
	v_mov_b32_e32 v6, v3
	v_mov_b32_e32 v8, v5
	v_mad_u64_u32 v[6:7], s[2:3], s7, v156, v[6:7]
	v_mov_b32_e32 v3, v6
	v_mad_u64_u32 v[6:7], s[2:3], s5, v222, v[8:9]
	v_mov_b32_e32 v5, v6
	v_lshl_add_u64 v[36:37], v[2:3], 4, v[0:1]
	s_movk_i32 s2, 0x1000
	v_lshl_add_u64 v[38:39], v[4:5], 4, v[36:37]
	v_add_co_u32_e64 v130, s[2:3], s2, v134
	global_load_dwordx4 v[0:3], v198, s[8:9]
	global_load_dwordx4 v[4:7], v[38:39], off
	v_addc_co_u32_e64 v131, s[2:3], 0, v135, s[2:3]
	s_mul_i32 s6, s5, 0x240
	v_mad_u64_u32 v[38:39], s[2:3], s4, v40, v[38:39]
	v_add_u32_e32 v39, s6, v39
	global_load_dwordx4 v[8:11], v198, s[8:9] offset:576
	global_load_dwordx4 v[12:15], v198, s[8:9] offset:1152
	;; [unrolled: 1-line block ×7, first 2 shown]
	global_load_dwordx4 v[42:45], v41, s[8:9]
	global_load_dwordx4 v[46:49], v[130:131], off offset:512
	global_load_dwordx4 v[50:53], v[130:131], off offset:1088
	global_load_dwordx4 v[54:57], v[38:39], off
	global_load_dwordx4 v[58:61], v[130:131], off offset:1664
	global_load_dwordx4 v[62:65], v[130:131], off offset:2240
	v_mad_u64_u32 v[38:39], s[2:3], s4, v40, v[38:39]
	v_add_u32_e32 v39, s6, v39
	global_load_dwordx4 v[66:69], v[38:39], off
	v_mad_u64_u32 v[38:39], s[2:3], s4, v40, v[38:39]
	v_add_u32_e32 v39, s6, v39
	global_load_dwordx4 v[70:73], v[38:39], off
	;; [unrolled: 3-line block ×10, first 2 shown]
	v_mad_u64_u32 v[38:39], s[2:3], s4, v40, v[38:39]
	v_add_u32_e32 v39, s6, v39
	v_mad_u64_u32 v[122:123], s[2:3], s4, v40, v[38:39]
	v_add_u32_e32 v123, s6, v123
	;; [unrolled: 2-line block ×3, first 2 shown]
	global_load_dwordx4 v[106:109], v[38:39], off
	v_mad_u64_u32 v[40:41], s[2:3], s4, v40, v[126:127]
	global_load_dwordx4 v[110:113], v[122:123], off
	global_load_dwordx4 v[114:117], v[130:131], off offset:2816
	global_load_dwordx4 v[118:121], v[130:131], off offset:3392
	v_add_u32_e32 v41, s6, v41
	s_movk_i32 s2, 0x2000
	global_load_dwordx4 v[122:125], v[126:127], off
	s_waitcnt vmcnt(28)
	v_mul_f64 v[38:39], v[6:7], v[2:3]
	global_load_dwordx4 v[126:129], v[40:41], off
	v_add_co_u32_e64 v40, s[2:3], s2, v134
	global_load_dwordx4 v[130:133], v[130:131], off offset:3968
	s_nop 0
	v_addc_co_u32_e64 v41, s[2:3], 0, v135, s[2:3]
	global_load_dwordx4 v[134:137], v[40:41], off offset:448
	v_mad_u64_u32 v[138:139], s[2:3], s4, v141, 0
	v_mov_b32_e32 v140, v139
	v_mad_u64_u32 v[40:41], s[2:3], s5, v141, v[140:141]
	v_mov_b32_e32 v139, v40
	v_lshl_add_u64 v[36:37], v[138:139], 4, v[36:37]
	global_load_dwordx4 v[138:141], v[36:37], off
	v_mul_f64 v[2:3], v[4:5], v[2:3]
	v_fmac_f64_e32 v[38:39], v[4:5], v[0:1]
	v_fma_f64 v[40:41], v[6:7], v[0:1], -v[2:3]
	s_waitcnt vmcnt(21)
	v_mul_f64 v[0:1], v[56:57], v[10:11]
	v_mul_f64 v[2:3], v[54:55], v[10:11]
	v_fmac_f64_e32 v[0:1], v[54:55], v[8:9]
	v_fma_f64 v[2:3], v[56:57], v[8:9], -v[2:3]
	ds_write_b128 v198, v[0:3] offset:576
	s_waitcnt vmcnt(18)
	v_mul_f64 v[0:1], v[68:69], v[14:15]
	v_mul_f64 v[2:3], v[66:67], v[14:15]
	v_fmac_f64_e32 v[0:1], v[66:67], v[12:13]
	v_fma_f64 v[2:3], v[68:69], v[12:13], -v[2:3]
	ds_write_b128 v198, v[0:3] offset:1152
	;; [unrolled: 6-line block ×15, first 2 shown]
	ds_write_b128 v198, v[38:41]
	s_waitcnt vmcnt(0)
	v_mul_f64 v[0:1], v[140:141], v[44:45]
	v_mul_f64 v[2:3], v[138:139], v[44:45]
	v_fmac_f64_e32 v[0:1], v[138:139], v[42:43]
	v_fma_f64 v[2:3], v[140:141], v[42:43], -v[2:3]
	ds_write_b128 v198, v[0:3] offset:9216
.LBB0_3:
	s_or_b64 exec, exec, s[14:15]
	s_load_dwordx2 s[4:5], s[0:1], 0x20
	s_load_dwordx2 s[2:3], s[0:1], 0x8
	s_waitcnt lgkmcnt(0)
	; wave barrier
	s_waitcnt lgkmcnt(0)
                                        ; implicit-def: $vgpr20_vgpr21
                                        ; implicit-def: $vgpr24_vgpr25
                                        ; implicit-def: $vgpr28_vgpr29
                                        ; implicit-def: $vgpr32_vgpr33
                                        ; implicit-def: $vgpr36_vgpr37
                                        ; implicit-def: $vgpr40_vgpr41
                                        ; implicit-def: $vgpr44_vgpr45
                                        ; implicit-def: $vgpr48_vgpr49
                                        ; implicit-def: $vgpr52_vgpr53
                                        ; implicit-def: $vgpr56_vgpr57
                                        ; implicit-def: $vgpr60_vgpr61
                                        ; implicit-def: $vgpr64_vgpr65
                                        ; implicit-def: $vgpr68_vgpr69
                                        ; implicit-def: $vgpr72_vgpr73
                                        ; implicit-def: $vgpr76_vgpr77
                                        ; implicit-def: $vgpr80_vgpr81
                                        ; implicit-def: $vgpr84_vgpr85
	s_and_saveexec_b64 s[0:1], vcc
	s_cbranch_execz .LBB0_5
; %bb.4:
	ds_read_b128 v[20:23], v198
	ds_read_b128 v[24:27], v198 offset:576
	ds_read_b128 v[28:31], v198 offset:1152
	;; [unrolled: 1-line block ×16, first 2 shown]
.LBB0_5:
	s_or_b64 exec, exec, s[0:1]
	s_mov_b32 s20, 0x5d8e7cdc
	s_waitcnt lgkmcnt(0)
	v_add_f64 v[104:105], v[26:27], -v[86:87]
	s_mov_b32 s0, 0x370991
	s_mov_b32 s21, 0xbfd71e95
	;; [unrolled: 1-line block ×3, first 2 shown]
	v_add_f64 v[132:133], v[24:25], v[84:85]
	v_add_f64 v[108:109], v[24:25], -v[84:85]
	s_mov_b32 s1, 0x3fedd6d0
	v_mul_f64 v[14:15], v[104:105], s[20:21]
	s_mov_b32 s14, 0x75d4884
	s_mov_b32 s25, 0xbfe58eea
	v_add_f64 v[106:107], v[30:31], -v[82:83]
	v_add_f64 v[134:135], v[26:27], v[86:87]
	v_mul_f64 v[18:19], v[108:109], s[20:21]
	v_fma_f64 v[0:1], s[0:1], v[132:133], v[14:15]
	s_mov_b32 s15, 0x3fe7a5f6
	s_mov_b32 s28, 0x7c9e640b
	v_add_f64 v[142:143], v[28:29], v[80:81]
	v_add_f64 v[110:111], v[28:29], -v[80:81]
	v_mul_f64 v[96:97], v[106:107], s[24:25]
	v_add_f64 v[0:1], v[20:21], v[0:1]
	v_fma_f64 v[2:3], v[134:135], s[0:1], -v[18:19]
	s_mov_b32 s6, 0x2b2883cd
	s_mov_b32 s29, 0xbfeca52d
	v_add_f64 v[144:145], v[30:31], v[82:83]
	v_mul_f64 v[98:99], v[110:111], s[24:25]
	v_fma_f64 v[4:5], s[14:15], v[142:143], v[96:97]
	v_add_f64 v[114:115], v[34:35], -v[78:79]
	v_add_f64 v[2:3], v[22:23], v[2:3]
	s_mov_b32 s7, 0x3fdc86fa
	s_mov_b32 s34, 0xeb564b22
	v_add_f64 v[0:1], v[4:5], v[0:1]
	v_fma_f64 v[4:5], v[144:145], s[14:15], -v[98:99]
	v_add_f64 v[150:151], v[32:33], v[76:77]
	v_add_f64 v[112:113], v[32:33], -v[76:77]
	v_mul_f64 v[100:101], v[114:115], s[28:29]
	s_mov_b32 s16, 0x3259b75e
	s_mov_b32 s35, 0xbfefdd0d
	v_add_f64 v[2:3], v[4:5], v[2:3]
	v_add_f64 v[152:153], v[34:35], v[78:79]
	v_mul_f64 v[102:103], v[112:113], s[28:29]
	v_fma_f64 v[4:5], s[6:7], v[150:151], v[100:101]
	v_add_f64 v[118:119], v[38:39], -v[74:75]
	s_mov_b32 s17, 0x3fb79ee6
	v_add_f64 v[0:1], v[4:5], v[0:1]
	v_fma_f64 v[4:5], v[152:153], s[6:7], -v[102:103]
	v_add_f64 v[158:159], v[36:37], v[72:73]
	v_add_f64 v[116:117], v[36:37], -v[72:73]
	v_mul_f64 v[236:237], v[118:119], s[34:35]
	s_mov_b32 s36, 0x923c349f
	v_add_f64 v[2:3], v[4:5], v[2:3]
	v_add_f64 v[160:161], v[38:39], v[74:75]
	v_mul_f64 v[6:7], v[116:117], s[34:35]
	v_fma_f64 v[4:5], s[16:17], v[158:159], v[236:237]
	s_mov_b32 s37, 0xbfeec746
	v_add_f64 v[0:1], v[4:5], v[0:1]
	v_fma_f64 v[4:5], v[160:161], s[16:17], -v[6:7]
	v_add_f64 v[234:235], v[42:43], -v[70:71]
	s_mov_b32 s10, 0xc61f0d01
	v_add_f64 v[2:3], v[4:5], v[2:3]
	v_mul_f64 v[4:5], v[234:235], s[36:37]
	s_mov_b32 s11, 0xbfd183b1
	v_add_f64 v[162:163], v[40:41], v[68:69]
	v_accvgpr_write_b32 a27, v5
	v_accvgpr_write_b32 a26, v4
	v_fma_f64 v[4:5], s[10:11], v[162:163], v[4:5]
	v_add_f64 v[228:229], v[40:41], -v[68:69]
	v_add_f64 v[0:1], v[4:5], v[0:1]
	v_mul_f64 v[4:5], v[228:229], s[36:37]
	v_add_f64 v[166:167], v[42:43], v[70:71]
	v_accvgpr_write_b32 a29, v5
	s_mov_b32 s38, 0x6c9a05f6
	v_accvgpr_write_b32 a28, v4
	v_fma_f64 v[4:5], v[166:167], s[10:11], -v[4:5]
	s_mov_b32 s39, 0xbfe9895b
	v_add_f64 v[252:253], v[46:47], -v[66:67]
	v_add_f64 v[2:3], v[4:5], v[2:3]
	s_mov_b32 s18, 0x6ed5f1bb
	v_mul_f64 v[4:5], v[252:253], s[38:39]
	s_mov_b32 s19, 0xbfe348c8
	v_add_f64 v[170:171], v[44:45], v[64:65]
	v_accvgpr_write_b32 a31, v5
	v_accvgpr_write_b32 a30, v4
	v_fma_f64 v[4:5], s[18:19], v[170:171], v[4:5]
	v_add_f64 v[246:247], v[44:45], -v[64:65]
	v_add_f64 v[0:1], v[4:5], v[0:1]
	v_mul_f64 v[4:5], v[246:247], s[38:39]
	v_add_f64 v[172:173], v[46:47], v[66:67]
	v_accvgpr_write_b32 a33, v5
	s_mov_b32 s44, 0x4363dd80
	v_accvgpr_write_b32 a32, v4
	v_fma_f64 v[4:5], v[172:173], s[18:19], -v[4:5]
	s_mov_b32 s45, 0x3fe0d888
	s_mov_b32 s41, 0xbfe0d888
	;; [unrolled: 1-line block ×3, first 2 shown]
	v_add_f64 v[196:197], v[50:51], -v[62:63]
	v_add_f64 v[2:3], v[4:5], v[2:3]
	s_mov_b32 s22, 0x910ea3b9
	v_mul_f64 v[4:5], v[196:197], s[40:41]
	s_mov_b32 s23, 0xbfeb34fa
	v_add_f64 v[176:177], v[48:49], v[60:61]
	v_accvgpr_write_b32 a35, v5
	v_accvgpr_write_b32 a34, v4
	v_fma_f64 v[4:5], s[22:23], v[176:177], v[4:5]
	v_add_f64 v[124:125], v[48:49], -v[60:61]
	v_add_f64 v[0:1], v[4:5], v[0:1]
	v_mul_f64 v[4:5], v[124:125], s[40:41]
	v_add_f64 v[180:181], v[50:51], v[62:63]
	v_accvgpr_write_b32 a37, v5
	s_mov_b32 s42, 0xacd6c6b4
	v_accvgpr_write_b32 a36, v4
	v_fma_f64 v[4:5], v[180:181], s[22:23], -v[4:5]
	s_mov_b32 s43, 0xbfc7851a
	v_add_f64 v[148:149], v[54:55], -v[58:59]
	v_add_f64 v[2:3], v[4:5], v[2:3]
	s_mov_b32 s26, 0x7faef3
	v_mul_f64 v[4:5], v[148:149], s[42:43]
	s_mov_b32 s27, 0xbfef7484
	v_add_f64 v[190:191], v[52:53], v[56:57]
	v_accvgpr_write_b32 a39, v5
	v_accvgpr_write_b32 a38, v4
	v_fma_f64 v[4:5], s[26:27], v[190:191], v[4:5]
	v_add_f64 v[146:147], v[52:53], -v[56:57]
	v_add_f64 v[230:231], v[4:5], v[0:1]
	v_mul_f64 v[0:1], v[146:147], s[42:43]
	v_add_f64 v[204:205], v[54:55], v[58:59]
	v_accvgpr_write_b32 a41, v1
	v_accvgpr_write_b32 a40, v0
	v_fma_f64 v[0:1], v[204:205], s[26:27], -v[0:1]
	v_add_f64 v[232:233], v[0:1], v[2:3]
	v_mul_f64 v[0:1], v[104:105], s[24:25]
	v_accvgpr_write_b32 a43, v1
	v_mul_f64 v[2:3], v[106:107], s[34:35]
	v_accvgpr_write_b32 a42, v0
	v_fma_f64 v[0:1], s[14:15], v[132:133], v[0:1]
	v_accvgpr_write_b32 a45, v3
	v_add_f64 v[0:1], v[20:21], v[0:1]
	v_accvgpr_write_b32 a44, v2
	v_fma_f64 v[2:3], s[16:17], v[142:143], v[2:3]
	v_add_f64 v[0:1], v[2:3], v[0:1]
	v_mul_f64 v[2:3], v[108:109], s[24:25]
	v_accvgpr_write_b32 a51, v3
	v_mul_f64 v[4:5], v[110:111], s[34:35]
	v_accvgpr_write_b32 a50, v2
	v_fma_f64 v[2:3], v[134:135], s[14:15], -v[2:3]
	v_accvgpr_write_b32 a53, v5
	v_add_f64 v[2:3], v[22:23], v[2:3]
	v_accvgpr_write_b32 a52, v4
	v_fma_f64 v[4:5], v[144:145], s[16:17], -v[4:5]
	v_add_f64 v[2:3], v[4:5], v[2:3]
	v_mul_f64 v[4:5], v[114:115], s[38:39]
	v_accvgpr_write_b32 a47, v5
	v_accvgpr_write_b32 a46, v4
	v_fma_f64 v[4:5], s[18:19], v[150:151], v[4:5]
	v_add_f64 v[0:1], v[4:5], v[0:1]
	v_mul_f64 v[4:5], v[112:113], s[38:39]
	v_accvgpr_write_b32 a57, v5
	v_accvgpr_write_b32 a56, v4
	v_fma_f64 v[4:5], v[152:153], s[18:19], -v[4:5]
	v_add_f64 v[2:3], v[4:5], v[2:3]
	v_mul_f64 v[4:5], v[118:119], s[42:43]
	v_accvgpr_write_b32 a49, v5
	v_accvgpr_write_b32 a48, v4
	v_fma_f64 v[4:5], s[26:27], v[158:159], v[4:5]
	v_add_f64 v[0:1], v[4:5], v[0:1]
	v_mul_f64 v[4:5], v[116:117], s[42:43]
	v_accvgpr_write_b32 a61, v5
	;; [unrolled: 10-line block ×3, first 2 shown]
	v_accvgpr_write_b32 a64, v4
	v_fma_f64 v[4:5], v[166:167], s[22:23], -v[4:5]
	s_mov_b32 s47, 0x3feec746
	s_mov_b32 s46, s36
	v_add_f64 v[2:3], v[4:5], v[2:3]
	v_mul_f64 v[4:5], v[252:253], s[46:47]
	v_accvgpr_write_b32 a59, v5
	v_accvgpr_write_b32 a58, v4
	v_fma_f64 v[4:5], s[10:11], v[170:171], v[4:5]
	v_add_f64 v[0:1], v[4:5], v[0:1]
	v_mul_f64 v[4:5], v[246:247], s[46:47]
	v_accvgpr_write_b32 a69, v5
	v_accvgpr_write_b32 a68, v4
	v_fma_f64 v[4:5], v[172:173], s[10:11], -v[4:5]
	s_mov_b32 s49, 0x3feca52d
	s_mov_b32 s48, s28
	v_add_f64 v[2:3], v[4:5], v[2:3]
	v_mul_f64 v[4:5], v[196:197], s[48:49]
	v_accvgpr_write_b32 a63, v5
	v_accvgpr_write_b32 a62, v4
	v_fma_f64 v[4:5], s[6:7], v[176:177], v[4:5]
	v_add_f64 v[0:1], v[4:5], v[0:1]
	v_mul_f64 v[4:5], v[124:125], s[48:49]
	v_accvgpr_write_b32 a71, v5
	;; [unrolled: 12-line block ×3, first 2 shown]
	v_accvgpr_write_b32 a72, v0
	v_fma_f64 v[0:1], v[204:205], s[0:1], -v[0:1]
	v_add_f64 v[226:227], v[0:1], v[2:3]
	v_mul_f64 v[0:1], v[104:105], s[28:29]
	v_accvgpr_write_b32 a75, v1
	v_mul_f64 v[2:3], v[106:107], s[38:39]
	v_accvgpr_write_b32 a74, v0
	v_fma_f64 v[0:1], s[6:7], v[132:133], v[0:1]
	v_accvgpr_write_b32 a77, v3
	v_add_f64 v[0:1], v[20:21], v[0:1]
	v_accvgpr_write_b32 a76, v2
	v_fma_f64 v[2:3], s[18:19], v[142:143], v[2:3]
	v_mul_f64 v[240:241], v[108:109], s[28:29]
	v_add_f64 v[0:1], v[2:3], v[0:1]
	v_fma_f64 v[2:3], v[134:135], s[6:7], -v[240:241]
	v_mul_f64 v[242:243], v[110:111], s[38:39]
	v_add_f64 v[2:3], v[22:23], v[2:3]
	v_fma_f64 v[4:5], v[144:145], s[18:19], -v[242:243]
	s_mov_b32 s53, 0x3fc7851a
	s_mov_b32 s52, s42
	v_add_f64 v[2:3], v[4:5], v[2:3]
	v_mul_f64 v[4:5], v[114:115], s[52:53]
	v_accvgpr_write_b32 a79, v5
	v_accvgpr_write_b32 a78, v4
	v_fma_f64 v[4:5], s[26:27], v[150:151], v[4:5]
	v_mul_f64 v[248:249], v[112:113], s[52:53]
	v_add_f64 v[0:1], v[4:5], v[0:1]
	v_fma_f64 v[4:5], v[152:153], s[26:27], -v[248:249]
	v_add_f64 v[2:3], v[4:5], v[2:3]
	v_mul_f64 v[4:5], v[118:119], s[46:47]
	v_accvgpr_write_b32 a81, v5
	v_accvgpr_write_b32 a80, v4
	v_fma_f64 v[4:5], s[10:11], v[158:159], v[4:5]
	v_mul_f64 v[250:251], v[116:117], s[46:47]
	v_add_f64 v[0:1], v[4:5], v[0:1]
	v_fma_f64 v[4:5], v[160:161], s[10:11], -v[250:251]
	s_mov_b32 s55, 0x3fe58eea
	s_mov_b32 s54, s24
	v_add_f64 v[2:3], v[4:5], v[2:3]
	v_mul_f64 v[4:5], v[234:235], s[54:55]
	v_accvgpr_write_b32 a83, v5
	v_accvgpr_write_b32 a82, v4
	v_fma_f64 v[4:5], s[14:15], v[162:163], v[4:5]
	v_mul_f64 v[254:255], v[228:229], s[54:55]
	v_add_f64 v[0:1], v[4:5], v[0:1]
	v_fma_f64 v[4:5], v[166:167], s[14:15], -v[254:255]
	v_add_f64 v[2:3], v[4:5], v[2:3]
	v_mul_f64 v[4:5], v[252:253], s[20:21]
	v_accvgpr_write_b32 a85, v5
	v_accvgpr_write_b32 a84, v4
	v_fma_f64 v[4:5], s[0:1], v[170:171], v[4:5]
	v_mul_f64 v[200:201], v[246:247], s[20:21]
	v_add_f64 v[0:1], v[4:5], v[0:1]
	v_fma_f64 v[4:5], v[172:173], s[0:1], -v[200:201]
	v_mul_f64 v[238:239], v[196:197], s[34:35]
	v_add_f64 v[2:3], v[4:5], v[2:3]
	v_fma_f64 v[4:5], s[16:17], v[176:177], v[238:239]
	v_mul_f64 v[120:121], v[124:125], s[34:35]
	v_add_f64 v[0:1], v[4:5], v[0:1]
	v_fma_f64 v[4:5], v[180:181], s[16:17], -v[120:121]
	v_mul_f64 v[244:245], v[148:149], s[40:41]
	v_add_f64 v[2:3], v[4:5], v[2:3]
	v_fma_f64 v[4:5], s[22:23], v[190:191], v[244:245]
	v_mul_f64 v[122:123], v[146:147], s[40:41]
	v_accvgpr_write_b32 a25, v7
	v_add_f64 v[4:5], v[4:5], v[0:1]
	v_fma_f64 v[0:1], v[204:205], s[22:23], -v[122:123]
	v_mul_f64 v[126:127], v[104:105], s[34:35]
	v_accvgpr_write_b32 a24, v6
	v_add_f64 v[6:7], v[0:1], v[2:3]
	v_fma_f64 v[0:1], s[16:17], v[132:133], v[126:127]
	v_mul_f64 v[128:129], v[106:107], s[42:43]
	v_add_f64 v[0:1], v[20:21], v[0:1]
	v_fma_f64 v[2:3], s[26:27], v[142:143], v[128:129]
	v_mul_f64 v[138:139], v[108:109], s[34:35]
	v_accvgpr_write_b32 a15, v7
	v_add_f64 v[2:3], v[2:3], v[0:1]
	v_fma_f64 v[0:1], v[134:135], s[16:17], -v[138:139]
	v_accvgpr_write_b32 a14, v6
	v_accvgpr_write_b32 a13, v5
	;; [unrolled: 1-line block ×3, first 2 shown]
	v_add_f64 v[4:5], v[22:23], v[0:1]
	v_mul_f64 v[0:1], v[110:111], s[42:43]
	v_fma_f64 v[6:7], v[144:145], s[26:27], -v[0:1]
	v_mul_f64 v[130:131], v[114:115], s[46:47]
	v_add_f64 v[4:5], v[6:7], v[4:5]
	v_fma_f64 v[6:7], s[10:11], v[150:151], v[130:131]
	v_mul_f64 v[164:165], v[112:113], s[46:47]
	v_add_f64 v[2:3], v[6:7], v[2:3]
	v_fma_f64 v[6:7], v[152:153], s[10:11], -v[164:165]
	v_mul_f64 v[136:137], v[118:119], s[50:51]
	v_add_f64 v[4:5], v[6:7], v[4:5]
	v_fma_f64 v[6:7], s[0:1], v[158:159], v[136:137]
	v_mul_f64 v[174:175], v[116:117], s[50:51]
	v_add_f64 v[2:3], v[6:7], v[2:3]
	;; [unrolled: 6-line block ×3, first 2 shown]
	v_fma_f64 v[2:3], v[166:167], s[6:7], -v[182:183]
	v_add_f64 v[4:5], v[2:3], v[4:5]
	v_mul_f64 v[2:3], v[252:253], s[40:41]
	v_fma_f64 v[12:13], s[22:23], v[170:171], v[2:3]
	v_mul_f64 v[184:185], v[246:247], s[40:41]
	s_mov_b32 s59, 0x3fe9895b
	s_mov_b32 s58, s38
	v_add_f64 v[6:7], v[12:13], v[6:7]
	v_fma_f64 v[12:13], v[172:173], s[22:23], -v[184:185]
	v_mul_f64 v[168:169], v[196:197], s[58:59]
	v_add_f64 v[4:5], v[12:13], v[4:5]
	v_fma_f64 v[12:13], s[18:19], v[176:177], v[168:169]
	v_mul_f64 v[186:187], v[124:125], s[58:59]
	v_add_f64 v[6:7], v[12:13], v[6:7]
	v_fma_f64 v[12:13], v[180:181], s[18:19], -v[186:187]
	v_mul_f64 v[178:179], v[148:149], s[54:55]
	v_add_f64 v[4:5], v[12:13], v[4:5]
	v_fma_f64 v[12:13], s[14:15], v[190:191], v[178:179]
	v_mul_f64 v[188:189], v[146:147], s[54:55]
	;; [unrolled: 6-line block ×3, first 2 shown]
	v_add_f64 v[4:5], v[20:21], v[4:5]
	v_fma_f64 v[6:7], s[22:23], v[142:143], v[194:195]
	v_mul_f64 v[208:209], v[108:109], s[36:37]
	v_add_f64 v[4:5], v[6:7], v[4:5]
	v_fma_f64 v[6:7], v[134:135], s[10:11], -v[208:209]
	v_mul_f64 v[88:89], v[110:111], s[44:45]
	v_add_f64 v[6:7], v[22:23], v[6:7]
	v_fma_f64 v[16:17], v[144:145], s[22:23], -v[88:89]
	v_mul_f64 v[202:203], v[114:115], s[54:55]
	v_add_f64 v[6:7], v[16:17], v[6:7]
	v_fma_f64 v[16:17], s[14:15], v[150:151], v[202:203]
	v_mul_f64 v[212:213], v[112:113], s[54:55]
	v_add_f64 v[4:5], v[16:17], v[4:5]
	v_fma_f64 v[16:17], v[152:153], s[14:15], -v[212:213]
	v_mul_f64 v[206:207], v[118:119], s[28:29]
	v_add_f64 v[6:7], v[16:17], v[6:7]
	v_fma_f64 v[16:17], s[6:7], v[158:159], v[206:207]
	v_mul_f64 v[216:217], v[116:117], s[28:29]
	v_add_f64 v[4:5], v[16:17], v[4:5]
	v_fma_f64 v[16:17], v[160:161], s[6:7], -v[216:217]
	v_mul_f64 v[210:211], v[234:235], s[42:43]
	v_add_f64 v[6:7], v[16:17], v[6:7]
	v_fma_f64 v[16:17], s[26:27], v[162:163], v[210:211]
	v_mul_f64 v[220:221], v[228:229], s[42:43]
	s_mov_b32 s57, 0x3fefdd0d
	s_mov_b32 s56, s34
	v_add_f64 v[4:5], v[16:17], v[4:5]
	v_fma_f64 v[16:17], v[166:167], s[26:27], -v[220:221]
	v_mul_f64 v[90:91], v[252:253], s[56:57]
	v_add_f64 v[6:7], v[16:17], v[6:7]
	v_fma_f64 v[16:17], s[16:17], v[170:171], v[90:91]
	v_mul_f64 v[92:93], v[246:247], s[56:57]
	v_add_f64 v[4:5], v[16:17], v[4:5]
	v_fma_f64 v[16:17], v[172:173], s[16:17], -v[92:93]
	v_mul_f64 v[214:215], v[196:197], s[20:21]
	v_add_f64 v[6:7], v[16:17], v[6:7]
	v_fma_f64 v[16:17], s[0:1], v[176:177], v[214:215]
	v_mul_f64 v[94:95], v[124:125], s[20:21]
	v_add_f64 v[4:5], v[16:17], v[4:5]
	v_fma_f64 v[16:17], v[180:181], s[0:1], -v[94:95]
	v_mul_f64 v[218:219], v[148:149], s[38:39]
	v_accvgpr_write_b32 a19, v11
	v_add_f64 v[6:7], v[16:17], v[6:7]
	v_fma_f64 v[16:17], s[18:19], v[190:191], v[218:219]
	v_mul_f64 v[154:155], v[146:147], s[38:39]
	v_accvgpr_write_b32 a18, v10
	v_accvgpr_write_b32 a17, v9
	v_accvgpr_write_b32 a16, v8
	v_add_f64 v[8:9], v[16:17], v[4:5]
	v_fma_f64 v[4:5], v[204:205], s[18:19], -v[154:155]
	v_add_f64 v[10:11], v[4:5], v[6:7]
	v_accvgpr_write_b32 a23, v11
	v_accvgpr_write_b32 a22, v10
	;; [unrolled: 1-line block ×4, first 2 shown]
	s_waitcnt lgkmcnt(0)
	; wave barrier
	s_and_saveexec_b64 s[30:31], vcc
	s_cbranch_execz .LBB0_7
; %bb.6:
	v_mul_f64 v[4:5], v[134:135], s[26:27]
	v_accvgpr_write_b32 a90, v96
	v_fma_f64 v[6:7], s[52:53], v[108:109], v[4:5]
	v_accvgpr_write_b32 a91, v97
	v_mul_f64 v[96:97], v[144:145], s[0:1]
	v_accvgpr_write_b32 a94, v98
	v_add_f64 v[6:7], v[22:23], v[6:7]
	v_accvgpr_write_b32 a95, v99
	v_fma_f64 v[98:99], s[20:21], v[110:111], v[96:97]
	v_add_f64 v[6:7], v[98:99], v[6:7]
	v_mul_f64 v[98:99], v[152:153], s[22:23]
	v_accvgpr_write_b32 a92, v100
	v_accvgpr_write_b32 a93, v101
	v_fma_f64 v[100:101], s[44:45], v[112:113], v[98:99]
	v_add_f64 v[6:7], v[100:101], v[6:7]
	v_mul_f64 v[100:101], v[160:161], s[14:15]
	v_accvgpr_write_b32 a96, v102
	;; [unrolled: 5-line block ×3, first 2 shown]
	v_fma_f64 v[156:157], s[58:59], v[228:229], v[102:103]
	v_add_f64 v[6:7], v[156:157], v[6:7]
	v_mul_f64 v[156:157], v[172:173], s[6:7]
	v_accvgpr_write_b32 a0, v222
	v_fma_f64 v[222:223], s[28:29], v[246:247], v[156:157]
	v_add_f64 v[6:7], v[222:223], v[6:7]
	v_mul_f64 v[222:223], v[180:181], s[10:11]
	v_fma_f64 v[8:9], s[46:47], v[124:125], v[222:223]
	v_add_f64 v[6:7], v[8:9], v[6:7]
	v_mul_f64 v[8:9], v[104:105], s[42:43]
	v_accvgpr_write_b32 a8, v224
	v_fma_f64 v[10:11], s[26:27], v[132:133], v[8:9]
	v_accvgpr_write_b32 a9, v225
	v_accvgpr_write_b32 a10, v226
	;; [unrolled: 1-line block ×3, first 2 shown]
	v_mul_f64 v[224:225], v[106:107], s[50:51]
	v_add_f64 v[10:11], v[20:21], v[10:11]
	v_fma_f64 v[12:13], s[0:1], v[142:143], v[224:225]
	v_add_f64 v[10:11], v[12:13], v[10:11]
	v_mul_f64 v[12:13], v[114:115], s[40:41]
	v_accvgpr_write_b32 a99, v15
	v_accvgpr_write_b32 a98, v14
	v_fma_f64 v[14:15], s[22:23], v[150:151], v[12:13]
	v_add_f64 v[10:11], v[14:15], v[10:11]
	v_mul_f64 v[14:15], v[118:119], s[54:55]
	v_fma_f64 v[16:17], s[14:15], v[158:159], v[14:15]
	v_add_f64 v[10:11], v[16:17], v[10:11]
	v_mul_f64 v[16:17], v[234:235], s[38:39]
	v_accvgpr_write_b32 a101, v19
	v_accvgpr_write_b32 a100, v18
	v_fma_f64 v[18:19], s[18:19], v[162:163], v[16:17]
	v_add_f64 v[10:11], v[18:19], v[10:11]
	v_mul_f64 v[18:19], v[252:253], s[48:49]
	v_fma_f64 v[226:227], s[6:7], v[170:171], v[18:19]
	v_add_f64 v[10:11], v[226:227], v[10:11]
	v_mul_f64 v[226:227], v[196:197], s[36:37]
	v_accvgpr_write_b32 a4, v230
	v_accvgpr_write_b32 a5, v231
	;; [unrolled: 1-line block ×4, first 2 shown]
	v_fma_f64 v[230:231], s[10:11], v[176:177], v[226:227]
	v_add_f64 v[10:11], v[230:231], v[10:11]
	v_mul_f64 v[230:231], v[204:205], s[16:17]
	v_fma_f64 v[232:233], s[34:35], v[146:147], v[230:231]
	v_accvgpr_write_b32 a106, v240
	v_accvgpr_write_b32 a107, v241
	v_add_f64 v[240:241], v[232:233], v[6:7]
	v_mul_f64 v[6:7], v[148:149], s[56:57]
	v_fmac_f64_e32 v[4:5], s[42:43], v[108:109]
	v_fma_f64 v[232:233], s[16:17], v[190:191], v[6:7]
	v_accvgpr_write_b32 a104, v238
	v_fmac_f64_e32 v[96:97], s[50:51], v[110:111]
	v_add_f64 v[4:5], v[22:23], v[4:5]
	v_fma_f64 v[8:9], v[132:133], s[26:27], -v[8:9]
	v_accvgpr_write_b32 a105, v239
	v_add_f64 v[238:239], v[232:233], v[10:11]
	v_add_f64 v[4:5], v[96:97], v[4:5]
	v_fmac_f64_e32 v[98:99], s[40:41], v[112:113]
	v_fma_f64 v[10:11], v[142:143], s[0:1], -v[224:225]
	v_add_f64 v[8:9], v[20:21], v[8:9]
	v_add_f64 v[4:5], v[98:99], v[4:5]
	v_fmac_f64_e32 v[100:101], s[54:55], v[116:117]
	v_add_f64 v[8:9], v[10:11], v[8:9]
	v_fma_f64 v[10:11], v[150:151], s[22:23], -v[12:13]
	v_add_f64 v[4:5], v[100:101], v[4:5]
	v_fmac_f64_e32 v[102:103], s[38:39], v[228:229]
	v_add_f64 v[8:9], v[10:11], v[8:9]
	v_fma_f64 v[10:11], v[158:159], s[14:15], -v[14:15]
	v_add_f64 v[4:5], v[102:103], v[4:5]
	v_fmac_f64_e32 v[156:157], s[48:49], v[246:247]
	v_add_f64 v[8:9], v[10:11], v[8:9]
	v_fma_f64 v[10:11], v[162:163], s[18:19], -v[16:17]
	v_add_f64 v[4:5], v[156:157], v[4:5]
	v_fmac_f64_e32 v[222:223], s[36:37], v[124:125]
	v_add_f64 v[8:9], v[10:11], v[8:9]
	v_fma_f64 v[10:11], v[170:171], s[6:7], -v[18:19]
	v_accvgpr_write_b32 a86, v238
	v_add_f64 v[4:5], v[222:223], v[4:5]
	v_add_f64 v[8:9], v[10:11], v[8:9]
	v_fma_f64 v[10:11], v[176:177], s[10:11], -v[226:227]
	v_fmac_f64_e32 v[230:231], s[56:57], v[146:147]
	v_accvgpr_write_b32 a87, v239
	v_accvgpr_write_b32 a88, v240
	;; [unrolled: 1-line block ×3, first 2 shown]
	v_add_f64 v[8:9], v[10:11], v[8:9]
	v_add_f64 v[240:241], v[230:231], v[4:5]
	v_fma_f64 v[4:5], v[190:191], s[16:17], -v[6:7]
	v_add_f64 v[238:239], v[4:5], v[8:9]
	v_mul_f64 v[4:5], v[134:135], s[22:23]
	v_fma_f64 v[6:7], s[44:45], v[108:109], v[4:5]
	v_mul_f64 v[8:9], v[144:145], s[6:7]
	v_add_f64 v[6:7], v[22:23], v[6:7]
	v_fma_f64 v[10:11], s[28:29], v[110:111], v[8:9]
	v_add_f64 v[6:7], v[10:11], v[6:7]
	v_mul_f64 v[10:11], v[152:153], s[16:17]
	v_fma_f64 v[12:13], s[56:57], v[112:113], v[10:11]
	v_add_f64 v[6:7], v[12:13], v[6:7]
	v_mul_f64 v[12:13], v[160:161], s[18:19]
	;; [unrolled: 3-line block ×5, first 2 shown]
	v_fma_f64 v[96:97], s[24:25], v[124:125], v[18:19]
	v_mul_f64 v[100:101], v[104:105], s[40:41]
	v_fmac_f64_e32 v[4:5], s[40:41], v[108:109]
	v_add_f64 v[6:7], v[96:97], v[6:7]
	v_fma_f64 v[96:97], s[22:23], v[132:133], v[100:101]
	v_mul_f64 v[102:103], v[106:107], s[48:49]
	v_fmac_f64_e32 v[8:9], s[48:49], v[110:111]
	v_add_f64 v[4:5], v[22:23], v[4:5]
	v_add_f64 v[96:97], v[20:21], v[96:97]
	v_fma_f64 v[98:99], s[6:7], v[142:143], v[102:103]
	v_mul_f64 v[156:157], v[114:115], s[34:35]
	v_add_f64 v[4:5], v[8:9], v[4:5]
	v_fmac_f64_e32 v[10:11], s[34:35], v[112:113]
	v_add_f64 v[96:97], v[98:99], v[96:97]
	v_fma_f64 v[98:99], s[16:17], v[150:151], v[156:157]
	v_mul_f64 v[222:223], v[118:119], s[58:59]
	v_add_f64 v[4:5], v[10:11], v[4:5]
	v_fma_f64 v[10:11], v[132:133], s[22:23], -v[100:101]
	v_add_f64 v[96:97], v[98:99], v[96:97]
	v_fma_f64 v[98:99], s[18:19], v[158:159], v[222:223]
	v_mul_f64 v[224:225], v[234:235], s[20:21]
	v_fma_f64 v[8:9], v[142:143], s[6:7], -v[102:103]
	v_add_f64 v[10:11], v[20:21], v[10:11]
	v_add_f64 v[96:97], v[98:99], v[96:97]
	v_fma_f64 v[98:99], s[0:1], v[162:163], v[224:225]
	v_mul_f64 v[226:227], v[252:253], s[42:43]
	v_fmac_f64_e32 v[12:13], s[58:59], v[116:117]
	v_add_f64 v[8:9], v[8:9], v[10:11]
	v_fma_f64 v[10:11], v[150:151], s[16:17], -v[156:157]
	v_add_f64 v[96:97], v[98:99], v[96:97]
	v_fma_f64 v[98:99], s[26:27], v[170:171], v[226:227]
	v_mul_f64 v[230:231], v[196:197], s[54:55]
	v_add_f64 v[4:5], v[12:13], v[4:5]
	v_fmac_f64_e32 v[14:15], s[20:21], v[228:229]
	v_add_f64 v[8:9], v[10:11], v[8:9]
	v_fma_f64 v[10:11], v[158:159], s[18:19], -v[222:223]
	v_add_f64 v[96:97], v[98:99], v[96:97]
	v_fma_f64 v[98:99], s[14:15], v[176:177], v[230:231]
	v_mul_f64 v[232:233], v[204:205], s[10:11]
	v_add_f64 v[4:5], v[14:15], v[4:5]
	v_fmac_f64_e32 v[16:17], s[42:43], v[246:247]
	v_add_f64 v[8:9], v[10:11], v[8:9]
	v_fma_f64 v[10:11], v[162:163], s[0:1], -v[224:225]
	v_add_f64 v[96:97], v[98:99], v[96:97]
	v_fma_f64 v[98:99], s[46:47], v[146:147], v[232:233]
	v_add_f64 v[4:5], v[16:17], v[4:5]
	v_fmac_f64_e32 v[18:19], s[54:55], v[124:125]
	v_add_f64 v[8:9], v[10:11], v[8:9]
	v_fma_f64 v[10:11], v[170:171], s[26:27], -v[226:227]
	v_add_f64 v[98:99], v[98:99], v[6:7]
	v_mul_f64 v[6:7], v[148:149], s[36:37]
	v_add_f64 v[4:5], v[18:19], v[4:5]
	v_add_f64 v[8:9], v[10:11], v[8:9]
	v_fma_f64 v[10:11], v[176:177], s[14:15], -v[230:231]
	v_fmac_f64_e32 v[232:233], s[36:37], v[146:147]
	v_add_f64 v[8:9], v[10:11], v[8:9]
	v_add_f64 v[102:103], v[232:233], v[4:5]
	v_fma_f64 v[4:5], v[190:191], s[10:11], -v[6:7]
	v_accvgpr_write_b32 a102, v236
	v_add_f64 v[100:101], v[4:5], v[8:9]
	v_mul_f64 v[4:5], v[134:135], s[18:19]
	v_accvgpr_write_b32 a103, v237
	v_fma_f64 v[236:237], s[10:11], v[190:191], v[6:7]
	v_fma_f64 v[6:7], s[58:59], v[108:109], v[4:5]
	v_mul_f64 v[8:9], v[144:145], s[10:11]
	v_add_f64 v[6:7], v[22:23], v[6:7]
	v_fma_f64 v[10:11], s[36:37], v[110:111], v[8:9]
	v_add_f64 v[6:7], v[10:11], v[6:7]
	v_mul_f64 v[10:11], v[152:153], s[0:1]
	v_fma_f64 v[12:13], s[50:51], v[112:113], v[10:11]
	v_add_f64 v[6:7], v[12:13], v[6:7]
	v_mul_f64 v[12:13], v[160:161], s[22:23]
	;; [unrolled: 3-line block ×4, first 2 shown]
	v_fmac_f64_e32 v[4:5], s[38:39], v[108:109]
	v_fma_f64 v[18:19], s[54:55], v[246:247], v[16:17]
	v_fmac_f64_e32 v[8:9], s[46:47], v[110:111]
	v_add_f64 v[4:5], v[22:23], v[4:5]
	v_add_f64 v[6:7], v[18:19], v[6:7]
	v_mul_f64 v[18:19], v[180:181], s[26:27]
	v_fmac_f64_e32 v[10:11], s[20:21], v[112:113]
	v_add_f64 v[4:5], v[8:9], v[4:5]
	v_fma_f64 v[156:157], s[52:53], v[124:125], v[18:19]
	v_mul_f64 v[222:223], v[104:105], s[38:39]
	v_fmac_f64_e32 v[12:13], s[40:41], v[116:117]
	v_add_f64 v[4:5], v[10:11], v[4:5]
	v_add_f64 v[6:7], v[156:157], v[6:7]
	v_mul_f64 v[156:157], v[106:107], s[46:47]
	v_fmac_f64_e32 v[14:15], s[56:57], v[228:229]
	v_add_f64 v[4:5], v[12:13], v[4:5]
	v_fma_f64 v[10:11], v[132:133], s[18:19], -v[222:223]
	v_mul_f64 v[114:115], v[114:115], s[20:21]
	v_fmac_f64_e32 v[16:17], s[24:25], v[246:247]
	v_add_f64 v[4:5], v[14:15], v[4:5]
	v_fma_f64 v[8:9], v[142:143], s[10:11], -v[156:157]
	v_add_f64 v[10:11], v[20:21], v[10:11]
	v_mul_f64 v[118:119], v[118:119], s[40:41]
	v_fmac_f64_e32 v[18:19], s[42:43], v[124:125]
	v_add_f64 v[4:5], v[16:17], v[4:5]
	v_add_f64 v[8:9], v[8:9], v[10:11]
	v_fma_f64 v[10:11], v[150:151], s[0:1], -v[114:115]
	v_mul_f64 v[224:225], v[234:235], s[56:57]
	v_add_f64 v[4:5], v[18:19], v[4:5]
	v_add_f64 v[8:9], v[10:11], v[8:9]
	v_fma_f64 v[10:11], v[158:159], s[22:23], -v[118:119]
	v_mul_f64 v[18:19], v[134:135], s[10:11]
	v_mul_f64 v[226:227], v[252:253], s[24:25]
	v_add_f64 v[8:9], v[10:11], v[8:9]
	v_fma_f64 v[10:11], v[162:163], s[16:17], -v[224:225]
	v_mul_f64 v[16:17], v[144:145], s[22:23]
	v_add_f64 v[18:19], v[208:209], v[18:19]
	v_mul_f64 v[196:197], v[196:197], s[42:43]
	v_add_f64 v[8:9], v[10:11], v[8:9]
	v_fma_f64 v[10:11], v[170:171], s[14:15], -v[226:227]
	v_mul_f64 v[14:15], v[152:153], s[14:15]
	v_add_f64 v[16:17], v[88:89], v[16:17]
	v_add_f64 v[18:19], v[22:23], v[18:19]
	v_fma_f64 v[104:105], s[18:19], v[132:133], v[222:223]
	v_add_f64 v[8:9], v[10:11], v[8:9]
	v_fma_f64 v[10:11], v[176:177], s[26:27], -v[196:197]
	v_mul_f64 v[12:13], v[160:161], s[6:7]
	v_add_f64 v[14:15], v[212:213], v[14:15]
	v_add_f64 v[16:17], v[16:17], v[18:19]
	;; [unrolled: 1-line block ×3, first 2 shown]
	v_fma_f64 v[106:107], s[10:11], v[142:143], v[156:157]
	v_add_f64 v[8:9], v[10:11], v[8:9]
	v_mul_f64 v[10:11], v[166:167], s[26:27]
	v_add_f64 v[12:13], v[216:217], v[12:13]
	v_add_f64 v[14:15], v[14:15], v[16:17]
	;; [unrolled: 1-line block ×3, first 2 shown]
	v_fma_f64 v[106:107], s[0:1], v[150:151], v[114:115]
	v_add_f64 v[10:11], v[220:221], v[10:11]
	v_add_f64 v[12:13], v[12:13], v[14:15]
	v_add_f64 v[104:105], v[106:107], v[104:105]
	v_fma_f64 v[106:107], s[22:23], v[158:159], v[118:119]
	v_add_f64 v[10:11], v[10:11], v[12:13]
	v_mul_f64 v[12:13], v[170:171], s[16:17]
	v_add_f64 v[104:105], v[106:107], v[104:105]
	v_fma_f64 v[106:107], s[16:17], v[162:163], v[224:225]
	v_add_f64 v[12:13], v[12:13], -v[90:91]
	v_mul_f64 v[90:91], v[132:133], s[10:11]
	v_add_f64 v[104:105], v[106:107], v[104:105]
	v_fma_f64 v[106:107], s[14:15], v[170:171], v[226:227]
	v_mul_f64 v[88:89], v[142:143], s[22:23]
	v_add_f64 v[90:91], v[90:91], -v[192:193]
	v_add_f64 v[104:105], v[106:107], v[104:105]
	v_fma_f64 v[106:107], s[26:27], v[176:177], v[196:197]
	v_mul_f64 v[230:231], v[204:205], s[6:7]
	v_mul_f64 v[18:19], v[150:151], s[14:15]
	v_add_f64 v[88:89], v[88:89], -v[194:195]
	v_add_f64 v[90:91], v[20:21], v[90:91]
	v_add_f64 v[104:105], v[106:107], v[104:105]
	v_fma_f64 v[106:107], s[28:29], v[146:147], v[230:231]
	v_mul_f64 v[16:17], v[158:159], s[6:7]
	v_add_f64 v[18:19], v[18:19], -v[202:203]
	v_add_f64 v[88:89], v[88:89], v[90:91]
	v_add_f64 v[106:107], v[106:107], v[6:7]
	v_mul_f64 v[6:7], v[148:149], s[48:49]
	v_fmac_f64_e32 v[230:231], s[48:49], v[146:147]
	v_mul_f64 v[14:15], v[162:163], s[26:27]
	v_add_f64 v[16:17], v[16:17], -v[206:207]
	v_add_f64 v[18:19], v[18:19], v[88:89]
	v_add_f64 v[110:111], v[230:231], v[4:5]
	v_fma_f64 v[4:5], v[190:191], s[6:7], -v[6:7]
	v_add_f64 v[14:15], v[14:15], -v[210:211]
	v_add_f64 v[16:17], v[16:17], v[18:19]
	v_add_f64 v[108:109], v[4:5], v[8:9]
	v_mul_f64 v[8:9], v[172:173], s[16:17]
	v_add_f64 v[14:15], v[14:15], v[16:17]
	v_mul_f64 v[16:17], v[144:145], s[26:27]
	v_fma_f64 v[148:149], s[6:7], v[190:191], v[6:7]
	v_mul_f64 v[6:7], v[180:181], s[0:1]
	v_add_f64 v[8:9], v[92:93], v[8:9]
	v_add_f64 v[0:1], v[0:1], v[16:17]
	v_mul_f64 v[16:17], v[134:135], s[16:17]
	v_add_f64 v[6:7], v[94:95], v[6:7]
	v_add_f64 v[8:9], v[8:9], v[10:11]
	;; [unrolled: 3-line block ×3, first 2 shown]
	v_mul_f64 v[8:9], v[190:191], s[18:19]
	v_add_f64 v[10:11], v[10:11], -v[214:215]
	v_add_f64 v[12:13], v[12:13], v[14:15]
	v_mul_f64 v[14:15], v[152:153], s[10:11]
	v_add_f64 v[16:17], v[22:23], v[16:17]
	v_add_f64 v[8:9], v[8:9], -v[218:219]
	v_add_f64 v[10:11], v[10:11], v[12:13]
	v_mul_f64 v[12:13], v[160:161], s[0:1]
	v_add_f64 v[14:15], v[164:165], v[14:15]
	v_add_f64 v[0:1], v[0:1], v[16:17]
	v_mul_f64 v[18:19], v[132:133], s[16:17]
	v_add_f64 v[112:113], v[8:9], v[10:11]
	v_mul_f64 v[10:11], v[166:167], s[6:7]
	v_add_f64 v[12:13], v[174:175], v[12:13]
	v_add_f64 v[0:1], v[14:15], v[0:1]
	v_mul_f64 v[16:17], v[142:143], s[26:27]
	v_add_f64 v[18:19], v[18:19], -v[126:127]
	v_add_f64 v[10:11], v[182:183], v[10:11]
	v_add_f64 v[0:1], v[12:13], v[0:1]
	v_mul_f64 v[14:15], v[150:151], s[10:11]
	v_add_f64 v[16:17], v[16:17], -v[128:129]
	v_add_f64 v[18:19], v[20:21], v[18:19]
	v_mul_f64 v[4:5], v[204:205], s[18:19]
	v_add_f64 v[0:1], v[10:11], v[0:1]
	v_mul_f64 v[10:11], v[170:171], s[22:23]
	v_mul_f64 v[12:13], v[158:159], s[0:1]
	v_add_f64 v[14:15], v[14:15], -v[130:131]
	v_add_f64 v[16:17], v[16:17], v[18:19]
	v_add_f64 v[4:5], v[154:155], v[4:5]
	v_mul_f64 v[8:9], v[172:173], s[22:23]
	v_add_f64 v[2:3], v[10:11], -v[2:3]
	v_mul_f64 v[10:11], v[162:163], s[6:7]
	v_add_f64 v[12:13], v[12:13], -v[136:137]
	v_add_f64 v[14:15], v[14:15], v[16:17]
	v_add_f64 v[114:115], v[4:5], v[6:7]
	v_mul_f64 v[6:7], v[180:181], s[18:19]
	v_add_f64 v[8:9], v[184:185], v[8:9]
	v_add_f64 v[10:11], v[10:11], -v[140:141]
	v_add_f64 v[12:13], v[12:13], v[14:15]
	v_add_f64 v[6:7], v[186:187], v[6:7]
	;; [unrolled: 1-line block ×3, first 2 shown]
	v_mul_f64 v[8:9], v[176:177], s[18:19]
	v_add_f64 v[10:11], v[10:11], v[12:13]
	v_add_f64 v[0:1], v[6:7], v[0:1]
	v_mul_f64 v[6:7], v[190:191], s[14:15]
	v_add_f64 v[8:9], v[8:9], -v[168:169]
	v_add_f64 v[2:3], v[2:3], v[10:11]
	v_mul_f64 v[4:5], v[204:205], s[14:15]
	v_add_f64 v[6:7], v[6:7], -v[178:179]
	v_add_f64 v[2:3], v[8:9], v[2:3]
	v_add_f64 v[4:5], v[188:189], v[4:5]
	;; [unrolled: 1-line block ×3, first 2 shown]
	v_mul_f64 v[2:3], v[180:181], s[16:17]
	v_add_f64 v[118:119], v[4:5], v[0:1]
	v_mul_f64 v[0:1], v[204:205], s[22:23]
	v_add_f64 v[2:3], v[120:121], v[2:3]
	v_accvgpr_read_b32 v121, a105
	v_add_f64 v[0:1], v[122:123], v[0:1]
	v_mul_f64 v[94:95], v[176:177], s[16:17]
	v_accvgpr_read_b32 v120, a104
	v_accvgpr_read_b32 v123, a85
	v_add_f64 v[94:95], v[94:95], -v[120:121]
	v_mul_f64 v[120:121], v[170:171], s[0:1]
	v_accvgpr_read_b32 v122, a84
	v_accvgpr_read_b32 v125, a83
	;; [unrolled: 1-line block ×3, first 2 shown]
	v_mul_f64 v[88:89], v[132:133], s[6:7]
	v_add_f64 v[120:121], v[120:121], -v[122:123]
	v_mul_f64 v[122:123], v[162:163], s[14:15]
	v_accvgpr_read_b32 v124, a82
	v_accvgpr_read_b32 v127, a81
	;; [unrolled: 1-line block ×4, first 2 shown]
	v_mul_f64 v[92:93], v[142:143], s[18:19]
	v_add_f64 v[122:123], v[122:123], -v[124:125]
	v_mul_f64 v[124:125], v[158:159], s[10:11]
	v_accvgpr_read_b32 v126, a80
	v_accvgpr_read_b32 v129, a79
	;; [unrolled: 1-line block ×3, first 2 shown]
	v_add_f64 v[88:89], v[88:89], -v[136:137]
	v_add_f64 v[124:125], v[124:125], -v[126:127]
	v_mul_f64 v[126:127], v[150:151], s[26:27]
	v_accvgpr_read_b32 v128, a78
	v_add_f64 v[92:93], v[92:93], -v[130:131]
	v_add_f64 v[88:89], v[20:21], v[88:89]
	v_add_f64 v[126:127], v[126:127], -v[128:129]
	v_add_f64 v[88:89], v[92:93], v[88:89]
	v_add_f64 v[88:89], v[126:127], v[88:89]
	v_accvgpr_read_b32 v16, a106
	v_add_f64 v[88:89], v[124:125], v[88:89]
	v_mul_f64 v[14:15], v[134:135], s[6:7]
	v_accvgpr_read_b32 v17, a107
	v_add_f64 v[88:89], v[122:123], v[88:89]
	v_mul_f64 v[8:9], v[160:161], s[10:11]
	v_mul_f64 v[12:13], v[144:145], s[18:19]
	v_add_f64 v[14:15], v[16:17], v[14:15]
	v_mul_f64 v[92:93], v[160:161], s[16:17]
	v_mul_f64 v[140:141], v[160:161], s[26:27]
	v_add_f64 v[88:89], v[120:121], v[88:89]
	v_accvgpr_read_b32 v161, a71
	v_mul_f64 v[10:11], v[152:153], s[26:27]
	v_add_f64 v[12:13], v[242:243], v[12:13]
	v_add_f64 v[14:15], v[22:23], v[14:15]
	;; [unrolled: 1-line block ×3, first 2 shown]
	v_mul_f64 v[94:95], v[180:181], s[6:7]
	v_accvgpr_read_b32 v160, a70
	v_add_f64 v[10:11], v[248:249], v[10:11]
	v_add_f64 v[12:13], v[12:13], v[14:15]
	;; [unrolled: 1-line block ×3, first 2 shown]
	v_accvgpr_read_b32 v161, a69
	v_add_f64 v[104:105], v[148:149], v[104:105]
	v_mul_f64 v[6:7], v[166:167], s[14:15]
	v_add_f64 v[8:9], v[250:251], v[8:9]
	v_add_f64 v[10:11], v[10:11], v[12:13]
	v_mul_f64 v[148:149], v[172:173], s[10:11]
	v_accvgpr_read_b32 v160, a68
	v_add_f64 v[6:7], v[254:255], v[6:7]
	v_add_f64 v[8:9], v[8:9], v[10:11]
	;; [unrolled: 1-line block ×3, first 2 shown]
	v_accvgpr_read_b32 v161, a65
	v_add_f64 v[6:7], v[6:7], v[8:9]
	v_mul_f64 v[8:9], v[144:145], s[14:15]
	v_mul_f64 v[90:91], v[144:145], s[16:17]
	;; [unrolled: 1-line block ×3, first 2 shown]
	v_accvgpr_read_b32 v160, a64
	v_add_f64 v[144:145], v[160:161], v[144:145]
	v_accvgpr_read_b32 v161, a61
	v_accvgpr_read_b32 v160, a60
	v_add_f64 v[140:141], v[160:161], v[140:141]
	v_accvgpr_read_b32 v161, a57
	v_mul_f64 v[14:15], v[134:135], s[0:1]
	v_mul_f64 v[18:19], v[134:135], s[14:15]
	;; [unrolled: 1-line block ×3, first 2 shown]
	v_accvgpr_read_b32 v160, a56
	v_add_f64 v[134:135], v[160:161], v[134:135]
	v_accvgpr_read_b32 v161, a53
	v_accvgpr_read_b32 v160, a52
	v_add_f64 v[90:91], v[160:161], v[90:91]
	v_accvgpr_read_b32 v161, a51
	v_accvgpr_read_b32 v160, a50
	v_add_f64 v[18:19], v[160:161], v[18:19]
	v_add_f64 v[18:19], v[22:23], v[18:19]
	;; [unrolled: 1-line block ×5, first 2 shown]
	v_accvgpr_read_b32 v141, a49
	v_mul_f64 v[138:139], v[158:159], s[26:27]
	v_accvgpr_read_b32 v140, a48
	v_add_f64 v[138:139], v[138:139], -v[140:141]
	v_accvgpr_read_b32 v141, a47
	v_mul_f64 v[4:5], v[172:173], s[0:1]
	v_mul_f64 v[16:17], v[132:133], s[0:1]
	;; [unrolled: 1-line block ×4, first 2 shown]
	v_accvgpr_read_b32 v140, a46
	v_add_f64 v[4:5], v[200:201], v[4:5]
	v_add_f64 v[132:133], v[132:133], -v[140:141]
	v_accvgpr_read_b32 v141, a45
	v_add_f64 v[4:5], v[4:5], v[6:7]
	v_mul_f64 v[6:7], v[142:143], s[16:17]
	v_accvgpr_read_b32 v140, a44
	v_add_f64 v[6:7], v[6:7], -v[140:141]
	v_accvgpr_read_b32 v141, a43
	v_accvgpr_read_b32 v140, a42
	v_add_f64 v[12:13], v[12:13], -v[140:141]
	v_add_f64 v[2:3], v[2:3], v[4:5]
	v_mul_f64 v[4:5], v[190:191], s[22:23]
	v_add_f64 v[18:19], v[144:145], v[18:19]
	v_add_f64 v[12:13], v[20:21], v[12:13]
	v_add_f64 v[4:5], v[4:5], -v[244:245]
	v_add_f64 v[18:19], v[148:149], v[18:19]
	v_add_f64 v[6:7], v[6:7], v[12:13]
	v_accvgpr_read_b32 v12, a36
	v_add_f64 v[2:3], v[0:1], v[2:3]
	v_add_f64 v[0:1], v[4:5], v[88:89]
	v_mul_f64 v[4:5], v[180:181], s[22:23]
	v_add_f64 v[18:19], v[94:95], v[18:19]
	v_accvgpr_read_b32 v95, a63
	v_accvgpr_read_b32 v13, a37
	v_mul_f64 v[88:89], v[176:177], s[6:7]
	v_accvgpr_read_b32 v94, a62
	v_accvgpr_read_b32 v135, a55
	v_add_f64 v[4:5], v[12:13], v[4:5]
	v_accvgpr_read_b32 v12, a32
	v_mul_f64 v[10:11], v[142:143], s[14:15]
	v_mul_f64 v[142:143], v[162:163], s[22:23]
	;; [unrolled: 1-line block ×3, first 2 shown]
	v_add_f64 v[88:89], v[88:89], -v[94:95]
	v_accvgpr_read_b32 v95, a59
	v_accvgpr_read_b32 v134, a54
	v_add_f64 v[6:7], v[132:133], v[6:7]
	v_accvgpr_read_b32 v13, a33
	v_mul_f64 v[146:147], v[170:171], s[10:11]
	v_accvgpr_read_b32 v94, a58
	v_add_f64 v[134:135], v[142:143], -v[134:135]
	v_add_f64 v[6:7], v[138:139], v[6:7]
	v_add_f64 v[12:13], v[12:13], v[120:121]
	v_accvgpr_read_b32 v121, a95
	v_add_f64 v[94:95], v[146:147], -v[94:95]
	v_add_f64 v[6:7], v[134:135], v[6:7]
	v_accvgpr_read_b32 v120, a94
	v_add_f64 v[6:7], v[94:95], v[6:7]
	v_accvgpr_read_b32 v95, a25
	;; [unrolled: 2-line block ×3, first 2 shown]
	v_accvgpr_read_b32 v155, a73
	v_accvgpr_read_b32 v94, a24
	;; [unrolled: 1-line block ×3, first 2 shown]
	v_mul_f64 v[130:131], v[152:153], s[6:7]
	v_mul_f64 v[152:153], v[204:205], s[0:1]
	v_accvgpr_read_b32 v154, a72
	v_add_f64 v[92:93], v[94:95], v[92:93]
	v_accvgpr_read_b32 v94, a96
	v_add_f64 v[14:15], v[120:121], v[14:15]
	v_add_f64 v[152:153], v[154:155], v[152:153]
	v_accvgpr_read_b32 v95, a97
	v_add_f64 v[14:15], v[22:23], v[14:15]
	;; [unrolled: 3-line block ×3, first 2 shown]
	v_add_f64 v[8:9], v[8:9], v[14:15]
	v_mul_f64 v[136:137], v[158:159], s[16:17]
	v_mul_f64 v[158:159], v[190:191], s[0:1]
	v_accvgpr_read_b32 v19, a67
	v_add_f64 v[8:9], v[94:95], v[8:9]
	v_add_f64 v[18:19], v[158:159], -v[18:19]
	v_add_f64 v[6:7], v[88:89], v[6:7]
	v_add_f64 v[8:9], v[92:93], v[8:9]
	v_accvgpr_read_b32 v93, a91
	v_add_f64 v[88:89], v[18:19], v[6:7]
	v_accvgpr_read_b32 v18, a28
	v_accvgpr_read_b32 v92, a90
	v_mul_f64 v[124:125], v[166:167], s[10:11]
	v_accvgpr_read_b32 v19, a29
	v_add_f64 v[10:11], v[10:11], -v[92:93]
	v_accvgpr_read_b32 v92, a98
	v_add_f64 v[18:19], v[18:19], v[124:125]
	v_accvgpr_read_b32 v93, a99
	v_add_f64 v[8:9], v[18:19], v[8:9]
	v_accvgpr_read_b32 v18, a92
	v_add_f64 v[16:17], v[16:17], -v[92:93]
	v_mul_f64 v[128:129], v[150:151], s[6:7]
	v_accvgpr_read_b32 v6, a40
	v_accvgpr_read_b32 v14, a102
	;; [unrolled: 1-line block ×3, first 2 shown]
	v_add_f64 v[16:17], v[20:21], v[16:17]
	v_mul_f64 v[156:157], v[204:205], s[26:27]
	v_accvgpr_read_b32 v7, a41
	v_add_f64 v[8:9], v[12:13], v[8:9]
	v_accvgpr_read_b32 v12, a26
	v_accvgpr_read_b32 v15, a103
	v_add_f64 v[18:19], v[128:129], -v[18:19]
	v_add_f64 v[10:11], v[10:11], v[16:17]
	v_mul_f64 v[126:127], v[162:163], s[10:11]
	v_add_f64 v[6:7], v[6:7], v[156:157]
	v_add_f64 v[4:5], v[4:5], v[8:9]
	v_accvgpr_read_b32 v8, a30
	v_accvgpr_read_b32 v13, a27
	v_add_f64 v[14:15], v[136:137], -v[14:15]
	v_add_f64 v[10:11], v[18:19], v[10:11]
	v_mul_f64 v[122:123], v[170:171], s[18:19]
	v_add_f64 v[94:95], v[6:7], v[4:5]
	v_accvgpr_read_b32 v6, a34
	v_accvgpr_read_b32 v9, a31
	v_add_f64 v[12:13], v[126:127], -v[12:13]
	v_add_f64 v[10:11], v[14:15], v[10:11]
	v_mul_f64 v[150:151], v[176:177], s[22:23]
	v_accvgpr_read_b32 v4, a38
	v_accvgpr_read_b32 v7, a35
	v_add_f64 v[8:9], v[122:123], -v[8:9]
	v_add_f64 v[10:11], v[12:13], v[10:11]
	v_mul_f64 v[154:155], v[190:191], s[26:27]
	v_accvgpr_read_b32 v5, a39
	v_add_f64 v[6:7], v[150:151], -v[6:7]
	v_add_f64 v[8:9], v[8:9], v[10:11]
	v_add_f64 v[4:5], v[154:155], -v[4:5]
	v_add_f64 v[6:7], v[6:7], v[8:9]
	v_add_f64 v[92:93], v[4:5], v[6:7]
	;; [unrolled: 1-line block ×32, first 2 shown]
	v_accvgpr_read_b32 v222, a0
	v_add_f64 v[4:5], v[4:5], v[80:81]
	v_accvgpr_read_b32 v227, a11
	v_accvgpr_read_b32 v233, a7
	v_add_f64 v[20:21], v[4:5], v[84:85]
	v_mul_lo_u16_e32 v4, 17, v222
	v_accvgpr_read_b32 v226, a10
	v_accvgpr_read_b32 v225, a9
	;; [unrolled: 1-line block ×7, first 2 shown]
	v_lshlrev_b32_e32 v4, 4, v4
	v_add_f64 v[96:97], v[236:237], v[96:97]
	ds_write_b128 v4, v[20:23]
	ds_write_b128 v4, v[92:95] offset:16
	ds_write_b128 v4, v[88:91] offset:32
	ds_write_b128 v4, v[0:3] offset:48
	ds_write_b128 v4, v[116:119] offset:64
	ds_write_b128 v4, v[112:115] offset:80
	ds_write_b128 v4, v[108:111] offset:96
	ds_write_b128 v4, v[100:103] offset:112
	ds_write_b128 v4, v[238:241] offset:128
	ds_write_b128 v4, a[86:89] offset:144
	ds_write_b128 v4, v[96:99] offset:160
	ds_write_b128 v4, v[104:107] offset:176
	ds_write_b128 v4, a[20:23] offset:192
	ds_write_b128 v4, a[16:19] offset:208
	ds_write_b128 v4, a[12:15] offset:224
	ds_write_b128 v4, a[8:11] offset:240
	ds_write_b128 v4, a[4:7] offset:256
.LBB0_7:
	s_or_b64 exec, exec, s[30:31]
	s_movk_i32 s0, 0xf1
	v_mul_lo_u16_sdwa v0, v222, s0 dst_sel:DWORD dst_unused:UNUSED_PAD src0_sel:BYTE_0 src1_sel:DWORD
	v_lshrrev_b16_e32 v20, 12, v0
	v_mul_lo_u16_e32 v0, 17, v20
	v_sub_u16_e32 v21, v222, v0
	v_add_u16_e32 v0, 51, v222
	v_mul_lo_u16_sdwa v1, v0, s0 dst_sel:DWORD dst_unused:UNUSED_PAD src0_sel:BYTE_0 src1_sel:DWORD
	v_lshrrev_b16_e32 v22, 12, v1
	v_mul_lo_u16_e32 v1, 17, v22
	v_sub_u16_e32 v0, v0, v1
	v_and_b32_e32 v23, 0xff, v0
	v_lshlrev_b32_e32 v0, 5, v23
	s_load_dwordx4 s[4:7], s[4:5], 0x0
	s_waitcnt lgkmcnt(0)
	; wave barrier
	s_waitcnt lgkmcnt(0)
	global_load_dwordx4 v[36:39], v0, s[2:3] offset:16
	global_load_dwordx4 v[32:35], v0, s[2:3]
	v_add_u16_e32 v0, 0x66, v222
	v_mul_lo_u16_sdwa v1, v0, s0 dst_sel:DWORD dst_unused:UNUSED_PAD src0_sel:BYTE_0 src1_sel:DWORD
	v_lshrrev_b16_e32 v24, 12, v1
	v_mul_lo_u16_e32 v1, 17, v24
	v_sub_u16_e32 v0, v0, v1
	v_and_b32_e32 v25, 0xff, v0
	v_lshlrev_b32_e32 v0, 5, v25
	global_load_dwordx4 v[40:43], v0, s[2:3] offset:16
	global_load_dwordx4 v[44:47], v0, s[2:3]
	v_add_u16_e32 v0, 0x99, v222
	v_mul_lo_u16_sdwa v1, v0, s0 dst_sel:DWORD dst_unused:UNUSED_PAD src0_sel:BYTE_0 src1_sel:DWORD
	v_lshrrev_b16_e32 v26, 12, v1
	v_mul_lo_u16_e32 v1, 17, v26
	v_sub_u16_e32 v0, v0, v1
	v_and_b32_e32 v27, 0xff, v0
	v_lshlrev_b32_e32 v0, 5, v27
	global_load_dwordx4 v[164:167], v0, s[2:3] offset:16
	global_load_dwordx4 v[168:171], v0, s[2:3]
	v_lshlrev_b16_e32 v0, 1, v21
	v_and_b32_e32 v0, 0xfe, v0
	v_lshlrev_b32_e32 v0, 4, v0
	global_load_dwordx4 v[172:175], v0, s[2:3]
	global_load_dwordx4 v[48:51], v0, s[2:3] offset:16
	v_mov_b32_e32 v28, 4
	v_lshlrev_b32_sdwa v154, v28, v222 dst_sel:DWORD dst_unused:UNUSED_PAD src0_sel:DWORD src1_sel:WORD_0
	ds_read_b128 v[0:3], v154
	ds_read_b128 v[52:55], v154 offset:816
	ds_read_b128 v[56:59], v154 offset:3264
	ds_read_b128 v[60:63], v154 offset:4080
	ds_read_b128 v[64:67], v154 offset:6528
	ds_read_b128 v[68:71], v154 offset:7344
	ds_read_b128 v[72:75], v154 offset:1632
	ds_read_b128 v[76:79], v154 offset:2448
	ds_read_b128 v[80:83], v154 offset:4896
	ds_read_b128 v[84:87], v154 offset:5712
	ds_read_b128 v[88:91], v154 offset:8160
	ds_read_b128 v[92:95], v154 offset:8976
	s_mov_b32 s10, 0xe8584caa
	s_mov_b32 s11, 0x3febb67a
	;; [unrolled: 1-line block ×4, first 2 shown]
	s_waitcnt lgkmcnt(0)
	; wave barrier
	s_waitcnt lgkmcnt(0)
	s_movk_i32 s14, 0x50
	s_movk_i32 s15, 0x1000
	v_mov_b32_e32 v199, 0
	v_lshlrev_b32_e32 v155, 4, v222
	s_waitcnt vmcnt(7)
	v_mul_f64 v[8:9], v[70:71], v[38:39]
	s_waitcnt vmcnt(6)
	v_mul_f64 v[6:7], v[60:61], v[34:35]
	v_mul_f64 v[4:5], v[62:63], v[34:35]
	v_fmac_f64_e32 v[6:7], v[62:63], v[32:33]
	v_mul_f64 v[10:11], v[68:69], v[38:39]
	v_fma_f64 v[4:5], v[60:61], v[32:33], -v[4:5]
	v_fma_f64 v[8:9], v[68:69], v[36:37], -v[8:9]
	v_fmac_f64_e32 v[10:11], v[70:71], v[36:37]
	s_waitcnt vmcnt(5)
	v_mul_f64 v[16:17], v[90:91], v[42:43]
	s_waitcnt vmcnt(4)
	v_mul_f64 v[12:13], v[82:83], v[46:47]
	v_fma_f64 v[12:13], v[80:81], v[44:45], -v[12:13]
	v_mul_f64 v[14:15], v[80:81], v[46:47]
	v_mul_f64 v[18:19], v[88:89], v[42:43]
	v_fma_f64 v[16:17], v[88:89], v[40:41], -v[16:17]
	v_fmac_f64_e32 v[14:15], v[82:83], v[44:45]
	v_fmac_f64_e32 v[18:19], v[90:91], v[40:41]
	s_waitcnt vmcnt(3)
	v_mul_f64 v[100:101], v[94:95], v[166:167]
	s_waitcnt vmcnt(2)
	v_mul_f64 v[96:97], v[86:87], v[170:171]
	v_mul_f64 v[98:99], v[84:85], v[170:171]
	v_fma_f64 v[96:97], v[84:85], v[168:169], -v[96:97]
	s_waitcnt vmcnt(1)
	v_mul_f64 v[104:105], v[58:59], v[174:175]
	s_waitcnt vmcnt(0)
	v_mul_f64 v[108:109], v[66:67], v[50:51]
	v_mul_f64 v[106:107], v[56:57], v[174:175]
	;; [unrolled: 1-line block ×3, first 2 shown]
	v_fma_f64 v[62:63], v[56:57], v[172:173], -v[104:105]
	v_fma_f64 v[64:65], v[64:65], v[48:49], -v[108:109]
	v_fmac_f64_e32 v[106:107], v[58:59], v[172:173]
	v_fmac_f64_e32 v[110:111], v[66:67], v[48:49]
	v_add_f64 v[58:59], v[62:63], v[64:65]
	v_add_f64 v[56:57], v[0:1], v[62:63]
	v_add_f64 v[66:67], v[106:107], -v[110:111]
	v_fmac_f64_e32 v[0:1], -0.5, v[58:59]
	v_fma_f64 v[60:61], s[10:11], v[66:67], v[0:1]
	v_fmac_f64_e32 v[0:1], s[0:1], v[66:67]
	v_add_f64 v[66:67], v[106:107], v[110:111]
	v_add_f64 v[56:57], v[56:57], v[64:65]
	;; [unrolled: 1-line block ×3, first 2 shown]
	v_fmac_f64_e32 v[2:3], -0.5, v[66:67]
	v_add_f64 v[64:65], v[62:63], -v[64:65]
	v_add_f64 v[66:67], v[4:5], v[8:9]
	v_fma_f64 v[62:63], s[0:1], v[64:65], v[2:3]
	v_fmac_f64_e32 v[2:3], s[10:11], v[64:65]
	v_add_f64 v[64:65], v[52:53], v[4:5]
	v_fmac_f64_e32 v[52:53], -0.5, v[66:67]
	v_add_f64 v[66:67], v[6:7], -v[10:11]
	v_fma_f64 v[68:69], s[10:11], v[66:67], v[52:53]
	v_fmac_f64_e32 v[52:53], s[0:1], v[66:67]
	v_add_f64 v[66:67], v[54:55], v[6:7]
	v_add_f64 v[6:7], v[6:7], v[10:11]
	v_fmac_f64_e32 v[54:55], -0.5, v[6:7]
	v_add_f64 v[4:5], v[4:5], -v[8:9]
	v_fma_f64 v[70:71], s[0:1], v[4:5], v[54:55]
	v_fmac_f64_e32 v[54:55], s[10:11], v[4:5]
	v_add_f64 v[4:5], v[72:73], v[12:13]
	v_add_f64 v[80:81], v[4:5], v[16:17]
	;; [unrolled: 1-line block ×3, first 2 shown]
	v_fmac_f64_e32 v[72:73], -0.5, v[4:5]
	v_add_f64 v[4:5], v[14:15], -v[18:19]
	v_fma_f64 v[84:85], s[10:11], v[4:5], v[72:73]
	v_fmac_f64_e32 v[72:73], s[0:1], v[4:5]
	v_add_f64 v[4:5], v[74:75], v[14:15]
	v_add_f64 v[82:83], v[4:5], v[18:19]
	;; [unrolled: 1-line block ×3, first 2 shown]
	v_fmac_f64_e32 v[74:75], -0.5, v[4:5]
	v_add_f64 v[4:5], v[12:13], -v[16:17]
	v_mul_f64 v[102:103], v[92:93], v[166:167]
	v_fmac_f64_e32 v[98:99], v[86:87], v[168:169]
	v_fma_f64 v[100:101], v[92:93], v[164:165], -v[100:101]
	v_fma_f64 v[86:87], s[0:1], v[4:5], v[74:75]
	v_fmac_f64_e32 v[74:75], s[10:11], v[4:5]
	v_add_f64 v[4:5], v[76:77], v[96:97]
	v_fmac_f64_e32 v[102:103], v[94:95], v[164:165]
	v_add_f64 v[88:89], v[4:5], v[100:101]
	v_add_f64 v[4:5], v[96:97], v[100:101]
	v_fmac_f64_e32 v[76:77], -0.5, v[4:5]
	v_add_f64 v[4:5], v[98:99], -v[102:103]
	v_fma_f64 v[92:93], s[10:11], v[4:5], v[76:77]
	v_fmac_f64_e32 v[76:77], s[0:1], v[4:5]
	v_add_f64 v[4:5], v[78:79], v[98:99]
	v_add_f64 v[90:91], v[4:5], v[102:103]
	;; [unrolled: 1-line block ×3, first 2 shown]
	v_fmac_f64_e32 v[78:79], -0.5, v[4:5]
	v_add_f64 v[4:5], v[96:97], -v[100:101]
	v_fma_f64 v[94:95], s[0:1], v[4:5], v[78:79]
	v_fmac_f64_e32 v[78:79], s[10:11], v[4:5]
	v_mad_legacy_u16 v4, v20, 51, v21
	v_add_f64 v[58:59], v[58:59], v[110:111]
	v_lshlrev_b32_sdwa v152, v28, v4 dst_sel:DWORD dst_unused:UNUSED_PAD src0_sel:DWORD src1_sel:BYTE_0
	ds_write_b128 v152, v[56:59]
	ds_write_b128 v152, v[60:63] offset:272
	ds_write_b128 v152, v[0:3] offset:544
	v_mul_u32_u24_e32 v0, 51, v22
	v_add_lshl_u32 v153, v0, v23, 4
	v_mul_u32_u24_e32 v0, 51, v24
	v_add_lshl_u32 v157, v0, v25, 4
	;; [unrolled: 2-line block ×3, first 2 shown]
	v_mov_b64_e32 v[0:1], s[2:3]
	v_add_f64 v[64:65], v[64:65], v[8:9]
	v_add_f64 v[66:67], v[66:67], v[10:11]
	v_mad_u64_u32 v[0:1], s[2:3], v222, s14, v[0:1]
	ds_write_b128 v153, v[64:67]
	ds_write_b128 v153, v[68:71] offset:272
	ds_write_b128 v153, v[52:55] offset:544
	ds_write_b128 v157, v[80:83]
	ds_write_b128 v157, v[84:87] offset:272
	ds_write_b128 v157, v[72:75] offset:544
	;; [unrolled: 3-line block ×3, first 2 shown]
	s_waitcnt lgkmcnt(0)
	; wave barrier
	s_waitcnt lgkmcnt(0)
	global_load_dwordx4 v[64:67], v[0:1], off offset:544
	global_load_dwordx4 v[60:63], v[0:1], off offset:560
	;; [unrolled: 1-line block ×5, first 2 shown]
	ds_read_b128 v[72:75], v154
	ds_read_b128 v[76:79], v154 offset:816
	ds_read_b128 v[80:83], v154 offset:1632
	ds_read_b128 v[84:87], v154 offset:2448
	ds_read_b128 v[88:91], v154 offset:3264
	ds_read_b128 v[92:95], v154 offset:4080
	ds_read_b128 v[96:99], v154 offset:4896
	ds_read_b128 v[100:103], v154 offset:5712
	ds_read_b128 v[104:107], v154 offset:6528
	ds_read_b128 v[108:111], v154 offset:7344
	ds_read_b128 v[112:115], v154 offset:8160
	ds_read_b128 v[116:119], v154 offset:8976
	s_movk_i32 s14, 0x2000
	s_waitcnt lgkmcnt(0)
	; wave barrier
	s_waitcnt vmcnt(4) lgkmcnt(0)
	v_mul_f64 v[4:5], v[80:81], v[66:67]
	v_mul_f64 v[2:3], v[82:83], v[66:67]
	v_fmac_f64_e32 v[4:5], v[82:83], v[64:65]
	v_mul_f64 v[82:83], v[86:87], v[66:67]
	s_waitcnt vmcnt(0)
	v_mul_f64 v[18:19], v[114:115], v[70:71]
	v_fma_f64 v[2:3], v[80:81], v[64:65], -v[2:3]
	v_mul_f64 v[14:15], v[106:107], v[54:55]
	v_fma_f64 v[18:19], v[112:113], v[68:69], -v[18:19]
	;; [unrolled: 2-line block ×5, first 2 shown]
	v_mul_f64 v[82:83], v[102:103], v[58:59]
	v_mul_f64 v[6:7], v[90:91], v[62:63]
	v_fma_f64 v[120:121], v[100:101], v[56:57], -v[82:83]
	v_mul_f64 v[100:101], v[100:101], v[58:59]
	v_mul_f64 v[82:83], v[110:111], v[54:55]
	v_fma_f64 v[6:7], v[88:89], v[60:61], -v[6:7]
	v_fmac_f64_e32 v[100:101], v[102:103], v[56:57]
	v_fma_f64 v[102:103], v[108:109], v[52:53], -v[82:83]
	v_mul_f64 v[108:109], v[108:109], v[54:55]
	v_mul_f64 v[82:83], v[118:119], v[70:71]
	;; [unrolled: 1-line block ×3, first 2 shown]
	v_fmac_f64_e32 v[108:109], v[110:111], v[52:53]
	v_fma_f64 v[110:111], v[116:117], v[68:69], -v[82:83]
	v_add_f64 v[82:83], v[72:73], v[6:7]
	v_fmac_f64_e32 v[8:9], v[90:91], v[60:61]
	v_fmac_f64_e32 v[16:17], v[106:107], v[52:53]
	v_mul_f64 v[106:107], v[92:93], v[62:63]
	v_add_f64 v[92:93], v[82:83], v[14:15]
	v_add_f64 v[82:83], v[6:7], v[14:15]
	v_mul_f64 v[10:11], v[98:99], v[58:59]
	v_fmac_f64_e32 v[72:73], -0.5, v[82:83]
	v_add_f64 v[82:83], v[8:9], -v[16:17]
	v_fma_f64 v[10:11], v[96:97], v[56:57], -v[10:11]
	v_mul_f64 v[12:13], v[96:97], v[58:59]
	v_fmac_f64_e32 v[106:107], v[94:95], v[60:61]
	v_fma_f64 v[94:95], s[10:11], v[82:83], v[72:73]
	v_fmac_f64_e32 v[72:73], s[0:1], v[82:83]
	v_add_f64 v[82:83], v[74:75], v[8:9]
	v_add_f64 v[8:9], v[8:9], v[16:17]
	v_fmac_f64_e32 v[12:13], v[98:99], v[56:57]
	v_fmac_f64_e32 v[80:81], v[114:115], v[68:69]
	v_fmac_f64_e32 v[74:75], -0.5, v[8:9]
	v_add_f64 v[6:7], v[6:7], -v[14:15]
	v_add_f64 v[14:15], v[10:11], v[18:19]
	v_fma_f64 v[8:9], s[0:1], v[6:7], v[74:75]
	v_fmac_f64_e32 v[74:75], s[10:11], v[6:7]
	v_add_f64 v[6:7], v[2:3], v[10:11]
	v_fmac_f64_e32 v[2:3], -0.5, v[14:15]
	v_add_f64 v[14:15], v[12:13], -v[80:81]
	v_add_f64 v[98:99], v[82:83], v[16:17]
	v_fma_f64 v[16:17], s[10:11], v[14:15], v[2:3]
	v_fmac_f64_e32 v[2:3], s[0:1], v[14:15]
	v_add_f64 v[14:15], v[4:5], v[12:13]
	v_add_f64 v[12:13], v[12:13], v[80:81]
	v_fmac_f64_e32 v[4:5], -0.5, v[12:13]
	v_add_f64 v[10:11], v[10:11], -v[18:19]
	v_add_f64 v[6:7], v[6:7], v[18:19]
	v_fma_f64 v[12:13], s[0:1], v[10:11], v[4:5]
	v_fmac_f64_e32 v[4:5], s[10:11], v[10:11]
	v_mul_f64 v[18:19], v[2:3], -0.5
	v_mul_f64 v[10:11], v[12:13], s[10:11]
	v_fmac_f64_e32 v[18:19], s[10:11], v[4:5]
	v_mul_f64 v[4:5], v[4:5], -0.5
	v_fmac_f64_e32 v[10:11], 0.5, v[16:17]
	v_mul_f64 v[16:17], v[16:17], s[0:1]
	v_fmac_f64_e32 v[4:5], s[0:1], v[2:3]
	v_mul_f64 v[114:115], v[84:85], v[66:67]
	v_add_f64 v[14:15], v[14:15], v[80:81]
	v_fmac_f64_e32 v[16:17], 0.5, v[12:13]
	v_add_f64 v[90:91], v[74:75], v[4:5]
	v_add_f64 v[74:75], v[74:75], -v[4:5]
	v_add_f64 v[4:5], v[104:105], v[102:103]
	v_fmac_f64_e32 v[114:115], v[86:87], v[64:65]
	v_mul_f64 v[116:117], v[116:117], v[70:71]
	v_add_f64 v[84:85], v[94:95], v[10:11]
	v_add_f64 v[82:83], v[98:99], v[14:15]
	;; [unrolled: 1-line block ×3, first 2 shown]
	v_add_f64 v[96:97], v[94:95], -v[10:11]
	v_add_f64 v[94:95], v[98:99], -v[14:15]
	;; [unrolled: 1-line block ×3, first 2 shown]
	v_add_f64 v[2:3], v[76:77], v[104:105]
	v_fmac_f64_e32 v[76:77], -0.5, v[4:5]
	v_add_f64 v[4:5], v[106:107], -v[108:109]
	v_add_f64 v[8:9], v[106:107], v[108:109]
	v_fmac_f64_e32 v[116:117], v[118:119], v[68:69]
	v_add_f64 v[80:81], v[92:93], v[6:7]
	v_add_f64 v[92:93], v[92:93], -v[6:7]
	v_fma_f64 v[6:7], s[10:11], v[4:5], v[76:77]
	v_fmac_f64_e32 v[76:77], s[0:1], v[4:5]
	v_add_f64 v[4:5], v[78:79], v[106:107]
	v_fmac_f64_e32 v[78:79], -0.5, v[8:9]
	v_add_f64 v[8:9], v[104:105], -v[102:103]
	v_add_f64 v[12:13], v[120:121], v[110:111]
	v_fma_f64 v[10:11], s[0:1], v[8:9], v[78:79]
	v_fmac_f64_e32 v[78:79], s[10:11], v[8:9]
	v_add_f64 v[8:9], v[112:113], v[120:121]
	v_fmac_f64_e32 v[112:113], -0.5, v[12:13]
	v_add_f64 v[12:13], v[100:101], -v[116:117]
	v_add_f64 v[16:17], v[100:101], v[116:117]
	v_fma_f64 v[14:15], s[10:11], v[12:13], v[112:113]
	v_fmac_f64_e32 v[112:113], s[0:1], v[12:13]
	v_add_f64 v[12:13], v[114:115], v[100:101]
	v_fmac_f64_e32 v[114:115], -0.5, v[16:17]
	v_add_f64 v[16:17], v[120:121], -v[110:111]
	v_add_f64 v[88:89], v[72:73], v[18:19]
	v_add_f64 v[72:73], v[72:73], -v[18:19]
	v_fma_f64 v[18:19], s[0:1], v[16:17], v[114:115]
	v_fmac_f64_e32 v[114:115], s[10:11], v[16:17]
	v_mul_f64 v[16:17], v[18:19], s[10:11]
	v_fmac_f64_e32 v[16:17], 0.5, v[14:15]
	v_mul_f64 v[14:15], v[14:15], s[0:1]
	v_add_f64 v[2:3], v[2:3], v[102:103]
	v_add_f64 v[8:9], v[8:9], v[110:111]
	v_fmac_f64_e32 v[14:15], 0.5, v[18:19]
	v_mul_f64 v[18:19], v[114:115], -0.5
	v_add_f64 v[100:101], v[2:3], v[8:9]
	v_mul_f64 v[118:119], v[112:113], -0.5
	v_fmac_f64_e32 v[18:19], s[0:1], v[112:113]
	v_add_f64 v[112:113], v[2:3], -v[8:9]
	v_lshlrev_b32_e32 v2, 6, v222
	v_sub_co_u32_e64 v2, s[0:1], v0, v2
	v_fmac_f64_e32 v[118:119], s[10:11], v[114:115]
	s_nop 0
	v_subbrev_co_u32_e64 v3, s[0:1], 0, v1, s[0:1]
	v_add_co_u32_e64 v0, s[0:1], s15, v2
	v_add_f64 v[4:5], v[4:5], v[108:109]
	v_add_f64 v[12:13], v[12:13], v[116:117]
	;; [unrolled: 1-line block ×4, first 2 shown]
	v_add_f64 v[76:77], v[76:77], -v[118:119]
	v_add_f64 v[78:79], v[78:79], -v[18:19]
	v_addc_co_u32_e64 v1, s[0:1], 0, v3, s[0:1]
	v_add_f64 v[104:105], v[6:7], v[16:17]
	v_add_f64 v[102:103], v[4:5], v[12:13]
	;; [unrolled: 1-line block ×3, first 2 shown]
	v_add_f64 v[116:117], v[6:7], -v[16:17]
	v_add_f64 v[114:115], v[4:5], -v[12:13]
	;; [unrolled: 1-line block ×3, first 2 shown]
	ds_write_b128 v154, v[80:83]
	ds_write_b128 v154, v[84:87] offset:816
	ds_write_b128 v154, v[88:91] offset:1632
	;; [unrolled: 1-line block ×11, first 2 shown]
	s_waitcnt lgkmcnt(0)
	; wave barrier
	s_waitcnt lgkmcnt(0)
	global_load_dwordx4 v[72:75], v[0:1], off offset:528
	global_load_dwordx4 v[76:79], v[0:1], off offset:1344
	;; [unrolled: 1-line block ×5, first 2 shown]
	v_add_co_u32_e64 v0, s[0:1], s14, v2
	s_nop 1
	v_addc_co_u32_e64 v1, s[0:1], 0, v3, s[0:1]
	global_load_dwordx4 v[92:95], v[0:1], off offset:512
	ds_read_b128 v[0:3], v154
	ds_read_b128 v[104:107], v154 offset:816
	ds_read_b128 v[96:99], v154 offset:4896
	;; [unrolled: 1-line block ×11, first 2 shown]
	s_waitcnt vmcnt(5) lgkmcnt(9)
	v_mul_f64 v[4:5], v[98:99], v[74:75]
	v_fma_f64 v[4:5], v[96:97], v[72:73], -v[4:5]
	v_mul_f64 v[6:7], v[96:97], v[74:75]
	s_waitcnt vmcnt(4) lgkmcnt(8)
	v_mul_f64 v[8:9], v[102:103], v[78:79]
	s_waitcnt vmcnt(1) lgkmcnt(1)
	v_mul_f64 v[96:97], v[126:127], v[90:91]
	v_mul_f64 v[10:11], v[100:101], v[78:79]
	;; [unrolled: 1-line block ×6, first 2 shown]
	v_fma_f64 v[140:141], v[124:125], v[88:89], -v[96:97]
	v_mul_f64 v[142:143], v[124:125], v[90:91]
	s_waitcnt vmcnt(0) lgkmcnt(0)
	v_mul_f64 v[96:97], v[134:135], v[94:95]
	v_mul_f64 v[146:147], v[132:133], v[94:95]
	v_fmac_f64_e32 v[6:7], v[98:99], v[72:73]
	v_fma_f64 v[8:9], v[100:101], v[76:77], -v[8:9]
	v_fmac_f64_e32 v[10:11], v[102:103], v[76:77]
	v_fma_f64 v[12:13], v[108:109], v[80:81], -v[12:13]
	;; [unrolled: 2-line block ×3, first 2 shown]
	v_fmac_f64_e32 v[18:19], v[118:119], v[84:85]
	v_fmac_f64_e32 v[142:143], v[126:127], v[88:89]
	v_fma_f64 v[144:145], v[132:133], v[92:93], -v[96:97]
	v_fmac_f64_e32 v[146:147], v[134:135], v[92:93]
	v_add_f64 v[100:101], v[0:1], -v[4:5]
	v_add_f64 v[102:103], v[2:3], -v[6:7]
	;; [unrolled: 1-line block ×12, first 2 shown]
	v_fma_f64 v[96:97], v[0:1], 2.0, -v[100:101]
	v_fma_f64 v[98:99], v[2:3], 2.0, -v[102:103]
	;; [unrolled: 1-line block ×12, first 2 shown]
	ds_write_b128 v154, v[96:99]
	ds_write_b128 v154, v[100:103] offset:4896
	ds_write_b128 v154, v[104:107] offset:816
	ds_write_b128 v154, v[108:111] offset:5712
	ds_write_b128 v154, v[112:115] offset:1632
	ds_write_b128 v154, v[116:119] offset:6528
	ds_write_b128 v154, v[120:123] offset:2448
	ds_write_b128 v154, v[124:127] offset:7344
	ds_write_b128 v154, v[128:131] offset:3264
	ds_write_b128 v154, v[132:135] offset:8160
	ds_write_b128 v154, v[136:139] offset:4080
	ds_write_b128 v154, v[140:143] offset:8976
	s_waitcnt lgkmcnt(0)
	; wave barrier
	s_waitcnt lgkmcnt(0)
	s_and_saveexec_b64 s[2:3], vcc
	s_cbranch_execz .LBB0_9
; %bb.8:
	s_add_u32 s10, s8, 0x2640
	s_addc_u32 s11, s9, 0
	global_load_dwordx4 v[148:151], v198, s[10:11]
	ds_read_b128 v[144:147], v154
	v_lshl_add_u64 v[0:1], s[10:11], 0, v[198:199]
	s_waitcnt vmcnt(0) lgkmcnt(0)
	v_mul_f64 v[2:3], v[146:147], v[150:151]
	v_mul_f64 v[162:163], v[144:145], v[150:151]
	v_fma_f64 v[160:161], v[144:145], v[148:149], -v[2:3]
	v_fmac_f64_e32 v[162:163], v[146:147], v[148:149]
	global_load_dwordx4 v[148:151], v198, s[10:11] offset:576
	ds_write_b128 v154, v[160:163]
	ds_read_b128 v[144:147], v155 offset:576
	s_waitcnt vmcnt(0) lgkmcnt(0)
	v_mul_f64 v[2:3], v[146:147], v[150:151]
	v_mul_f64 v[162:163], v[144:145], v[150:151]
	v_fma_f64 v[160:161], v[144:145], v[148:149], -v[2:3]
	v_fmac_f64_e32 v[162:163], v[146:147], v[148:149]
	global_load_dwordx4 v[148:151], v198, s[10:11] offset:1152
	ds_read_b128 v[144:147], v155 offset:1152
	ds_write_b128 v155, v[160:163] offset:576
	s_waitcnt vmcnt(0) lgkmcnt(1)
	v_mul_f64 v[2:3], v[146:147], v[150:151]
	v_mul_f64 v[162:163], v[144:145], v[150:151]
	v_fma_f64 v[160:161], v[144:145], v[148:149], -v[2:3]
	v_fmac_f64_e32 v[162:163], v[146:147], v[148:149]
	global_load_dwordx4 v[148:151], v198, s[10:11] offset:1728
	ds_read_b128 v[144:147], v155 offset:1728
	ds_write_b128 v155, v[160:163] offset:1152
	;; [unrolled: 8-line block ×6, first 2 shown]
	s_waitcnt vmcnt(0) lgkmcnt(1)
	v_mul_f64 v[2:3], v[146:147], v[150:151]
	v_fma_f64 v[160:161], v[144:145], v[148:149], -v[2:3]
	v_add_co_u32_e64 v2, s[0:1], s15, v0
	v_mul_f64 v[162:163], v[144:145], v[150:151]
	s_nop 0
	v_addc_co_u32_e64 v3, s[0:1], 0, v1, s[0:1]
	v_fmac_f64_e32 v[162:163], v[146:147], v[148:149]
	global_load_dwordx4 v[148:151], v[2:3], off offset:512
	ds_read_b128 v[144:147], v155 offset:4608
	ds_write_b128 v155, v[160:163] offset:4032
	v_add_co_u32_e64 v0, s[0:1], s14, v0
	s_waitcnt vmcnt(0) lgkmcnt(1)
	v_mul_f64 v[4:5], v[146:147], v[150:151]
	v_mul_f64 v[162:163], v[144:145], v[150:151]
	v_fma_f64 v[160:161], v[144:145], v[148:149], -v[4:5]
	v_fmac_f64_e32 v[162:163], v[146:147], v[148:149]
	global_load_dwordx4 v[148:151], v[2:3], off offset:1088
	ds_read_b128 v[144:147], v155 offset:5184
	ds_write_b128 v155, v[160:163] offset:4608
	v_addc_co_u32_e64 v1, s[0:1], 0, v1, s[0:1]
	s_waitcnt vmcnt(0) lgkmcnt(1)
	v_mul_f64 v[4:5], v[146:147], v[150:151]
	v_mul_f64 v[162:163], v[144:145], v[150:151]
	v_fma_f64 v[160:161], v[144:145], v[148:149], -v[4:5]
	v_fmac_f64_e32 v[162:163], v[146:147], v[148:149]
	global_load_dwordx4 v[148:151], v[2:3], off offset:1664
	ds_read_b128 v[144:147], v155 offset:5760
	ds_write_b128 v155, v[160:163] offset:5184
	s_waitcnt vmcnt(0) lgkmcnt(1)
	v_mul_f64 v[4:5], v[146:147], v[150:151]
	v_mul_f64 v[162:163], v[144:145], v[150:151]
	v_fma_f64 v[160:161], v[144:145], v[148:149], -v[4:5]
	v_fmac_f64_e32 v[162:163], v[146:147], v[148:149]
	global_load_dwordx4 v[148:151], v[2:3], off offset:2240
	ds_read_b128 v[144:147], v155 offset:6336
	ds_write_b128 v155, v[160:163] offset:5760
	;; [unrolled: 8-line block ×5, first 2 shown]
	s_waitcnt vmcnt(0) lgkmcnt(1)
	v_mul_f64 v[2:3], v[146:147], v[150:151]
	v_fma_f64 v[160:161], v[144:145], v[148:149], -v[2:3]
	global_load_dwordx4 v[0:3], v[0:1], off offset:448
	v_mul_f64 v[162:163], v[144:145], v[150:151]
	v_fmac_f64_e32 v[162:163], v[146:147], v[148:149]
	ds_read_b128 v[144:147], v155 offset:8640
	ds_write_b128 v155, v[160:163] offset:8064
	s_waitcnt vmcnt(0) lgkmcnt(1)
	v_mul_f64 v[4:5], v[146:147], v[2:3]
	v_mul_f64 v[150:151], v[144:145], v[2:3]
	v_fma_f64 v[148:149], v[144:145], v[0:1], -v[4:5]
	v_fmac_f64_e32 v[150:151], v[146:147], v[0:1]
	v_or_b32_e32 v0, 0x2400, v198
	ds_write_b128 v155, v[148:151] offset:8640
	global_load_dwordx4 v[148:151], v0, s[10:11]
	ds_read_b128 v[144:147], v155 offset:9216
	s_waitcnt vmcnt(0) lgkmcnt(0)
	v_mul_f64 v[0:1], v[146:147], v[150:151]
	v_mul_f64 v[2:3], v[144:145], v[150:151]
	v_fma_f64 v[0:1], v[144:145], v[148:149], -v[0:1]
	v_fmac_f64_e32 v[2:3], v[146:147], v[148:149]
	ds_write_b128 v155, v[0:3] offset:9216
.LBB0_9:
	s_or_b64 exec, exec, s[2:3]
	s_waitcnt lgkmcnt(0)
	; wave barrier
	s_waitcnt lgkmcnt(0)
	s_and_saveexec_b64 s[0:1], vcc
	s_cbranch_execz .LBB0_11
; %bb.10:
	ds_read_b128 v[96:99], v154
	ds_read_b128 v[100:103], v154 offset:576
	ds_read_b128 v[104:107], v154 offset:1152
	;; [unrolled: 1-line block ×16, first 2 shown]
.LBB0_11:
	s_or_b64 exec, exec, s[0:1]
	s_waitcnt lgkmcnt(0)
	; wave barrier
	s_waitcnt lgkmcnt(0)
	s_and_saveexec_b64 s[0:1], vcc
	s_cbranch_execz .LBB0_13
; %bb.12:
	v_accvgpr_write_b32 a42, v76
	v_accvgpr_write_b32 a43, v77
	;; [unrolled: 1-line block ×4, first 2 shown]
	v_accvgpr_read_b32 v79, a23
	v_accvgpr_read_b32 v78, a22
	;; [unrolled: 1-line block ×4, first 2 shown]
	v_accvgpr_write_b32 a20, v44
	v_accvgpr_write_b32 a28, v48
	s_mov_b32 s34, 0xacd6c6b4
	v_accvgpr_write_b32 a21, v45
	v_accvgpr_write_b32 a22, v46
	;; [unrolled: 1-line block ×3, first 2 shown]
	v_mov_b64_e32 v[44:45], v[224:225]
	v_accvgpr_write_b32 a38, v72
	v_accvgpr_write_b32 a29, v49
	;; [unrolled: 1-line block ×4, first 2 shown]
	v_accvgpr_read_b32 v51, a15
	s_mov_b32 s38, 0x5d8e7cdc
	v_add_f64 v[200:201], v[100:101], -v[230:231]
	s_mov_b32 s35, 0xbfc7851a
	s_mov_b32 s28, 0x7faef3
	v_mov_b64_e32 v[46:47], v[226:227]
	v_accvgpr_write_b32 a39, v73
	v_accvgpr_write_b32 a40, v74
	;; [unrolled: 1-line block ×3, first 2 shown]
	v_accvgpr_read_b32 v75, a19
	v_accvgpr_read_b32 v49, a13
	v_accvgpr_read_b32 v48, a12
	s_mov_b32 s30, 0x4363dd80
	v_add_f64 v[246:247], v[104:105], -v[44:45]
	s_mov_b32 s39, 0x3fd71e95
	s_mov_b32 s24, 0x370991
	v_accvgpr_write_b32 a2, v156
	v_accvgpr_write_b32 a3, v157
	v_mul_f64 v[156:157], v[200:201], s[34:35]
	v_add_f64 v[224:225], v[102:103], v[232:233]
	s_mov_b32 s29, 0xbfef7484
	v_accvgpr_read_b32 v73, a17
	v_accvgpr_read_b32 v72, a16
	s_mov_b32 s44, 0x2a9d6da3
	v_accvgpr_read_b32 v50, a14
	v_add_f64 v[238:239], v[108:109], -v[48:49]
	s_mov_b32 s31, 0xbfe0d888
	v_mul_f64 v[148:149], v[246:247], s[38:39]
	v_add_f64 v[220:221], v[106:107], v[46:47]
	s_mov_b32 s25, 0x3fedd6d0
	v_mov_b32_e32 v199, v152
	v_accvgpr_write_b32 a1, v153
	v_fma_f64 v[152:153], s[28:29], v[224:225], v[156:157]
	s_mov_b32 s26, 0x6c9a05f6
	v_accvgpr_read_b32 v74, a18
	v_add_f64 v[226:227], v[112:113], -v[72:73]
	s_mov_b32 s45, 0x3fe58eea
	s_mov_b32 s18, 0x75d4884
	v_mul_f64 v[144:145], v[238:239], s[30:31]
	v_add_f64 v[216:217], v[110:111], v[50:51]
	v_fma_f64 v[150:151], s[24:25], v[220:221], v[148:149]
	v_add_f64 v[152:153], v[98:99], v[152:153]
	s_mov_b32 s36, 0x7c9e640b
	v_accvgpr_write_b32 a0, v222
	v_add_f64 v[222:223], v[116:117], -v[76:77]
	s_mov_b32 s27, 0xbfe9895b
	s_mov_b32 s16, 0x6ed5f1bb
	v_mul_f64 v[16:17], v[226:227], s[44:45]
	v_add_f64 v[212:213], v[114:115], v[74:75]
	s_mov_b32 s19, 0x3fe7a5f6
	v_fma_f64 v[146:147], s[22:23], v[216:217], v[144:145]
	v_add_f64 v[150:151], v[150:151], v[152:153]
	s_mov_b32 s20, 0x923c349f
	v_add_f64 v[218:219], v[120:121], -v[140:141]
	s_mov_b32 s37, 0x3feca52d
	s_mov_b32 s14, 0x2b2883cd
	v_mul_f64 v[12:13], v[222:223], s[26:27]
	v_add_f64 v[208:209], v[118:119], v[78:79]
	s_mov_b32 s17, 0xbfe348c8
	v_fma_f64 v[18:19], s[18:19], v[212:213], v[16:17]
	v_add_f64 v[146:147], v[146:147], v[150:151]
	s_mov_b32 s48, 0xeb564b22
	v_add_f64 v[214:215], v[124:125], -v[136:137]
	s_mov_b32 s21, 0xbfeec746
	s_mov_b32 s10, 0xc61f0d01
	v_mul_f64 v[8:9], v[218:219], s[36:37]
	v_add_f64 v[206:207], v[122:123], v[142:143]
	s_mov_b32 s15, 0x3fdc86fa
	v_fma_f64 v[14:15], s[16:17], v[208:209], v[12:13]
	v_add_f64 v[18:19], v[18:19], v[146:147]
	v_accvgpr_write_b32 a12, v40
	v_add_f64 v[210:211], v[128:129], -v[132:133]
	s_mov_b32 s49, 0x3fefdd0d
	s_mov_b32 s2, 0x3259b75e
	v_mul_f64 v[6:7], v[214:215], s[20:21]
	v_add_f64 v[204:205], v[126:127], v[138:139]
	s_mov_b32 s11, 0xbfd183b1
	v_fma_f64 v[10:11], s[14:15], v[206:207], v[8:9]
	v_add_f64 v[14:15], v[14:15], v[18:19]
	v_accvgpr_write_b32 a13, v41
	v_accvgpr_write_b32 a14, v42
	;; [unrolled: 1-line block ×3, first 2 shown]
	v_mov_b64_e32 v[40:41], v[230:231]
	v_mul_f64 v[4:5], v[210:211], s[48:49]
	v_add_f64 v[202:203], v[130:131], v[134:135]
	s_mov_b32 s3, 0x3fb79ee6
	v_fma_f64 v[2:3], s[10:11], v[204:205], v[6:7]
	v_add_f64 v[10:11], v[10:11], v[14:15]
	v_mov_b64_e32 v[42:43], v[232:233]
	v_fma_f64 v[0:1], s[2:3], v[202:203], v[4:5]
	v_add_f64 v[2:3], v[2:3], v[10:11]
	v_add_f64 v[152:153], v[102:103], -v[42:43]
	v_add_f64 v[22:23], v[0:1], v[2:3]
	v_add_f64 v[2:3], v[106:107], -v[46:47]
	v_accvgpr_write_b32 a32, v172
	v_add_f64 v[244:245], v[100:101], v[40:41]
	v_mul_f64 v[176:177], v[152:153], s[34:35]
	v_add_f64 v[0:1], v[110:111], -v[50:51]
	v_accvgpr_write_b32 a24, v168
	v_add_f64 v[242:243], v[104:105], v[44:45]
	v_accvgpr_write_b32 a33, v173
	v_accvgpr_write_b32 a34, v174
	;; [unrolled: 1-line block ×3, first 2 shown]
	v_mul_f64 v[172:173], v[2:3], s[38:39]
	v_fma_f64 v[178:179], v[244:245], s[28:29], -v[176:177]
	v_add_f64 v[196:197], v[114:115], -v[74:75]
	v_accvgpr_write_b32 a16, v164
	v_add_f64 v[240:241], v[108:109], v[48:49]
	v_accvgpr_write_b32 a25, v169
	v_accvgpr_write_b32 a26, v170
	;; [unrolled: 1-line block ×3, first 2 shown]
	v_mul_f64 v[168:169], v[0:1], s[30:31]
	v_fma_f64 v[174:175], v[242:243], s[24:25], -v[172:173]
	v_add_f64 v[178:179], v[96:97], v[178:179]
	v_add_f64 v[254:255], v[118:119], -v[78:79]
	v_add_f64 v[236:237], v[112:113], v[72:73]
	v_accvgpr_write_b32 a17, v165
	v_accvgpr_write_b32 a18, v166
	;; [unrolled: 1-line block ×3, first 2 shown]
	v_mul_f64 v[164:165], v[196:197], s[44:45]
	v_fma_f64 v[170:171], v[240:241], s[22:23], -v[168:169]
	v_add_f64 v[174:175], v[174:175], v[178:179]
	v_add_f64 v[252:253], v[122:123], -v[142:143]
	v_add_f64 v[234:235], v[116:117], v[76:77]
	v_mul_f64 v[160:161], v[254:255], s[26:27]
	v_fma_f64 v[166:167], v[236:237], s[18:19], -v[164:165]
	v_add_f64 v[170:171], v[170:171], v[174:175]
	v_add_f64 v[250:251], v[126:127], -v[138:139]
	v_add_f64 v[232:233], v[120:121], v[140:141]
	;; [unrolled: 5-line block ×3, first 2 shown]
	v_mul_f64 v[18:19], v[250:251], s[20:21]
	v_accvgpr_write_b32 a36, v158
	v_fma_f64 v[158:159], v[232:233], s[14:15], -v[150:151]
	v_add_f64 v[162:163], v[162:163], v[166:167]
	v_add_f64 v[228:229], v[128:129], v[132:133]
	v_mul_f64 v[10:11], v[248:249], s[48:49]
	v_fma_f64 v[146:147], v[230:231], s[10:11], -v[18:19]
	v_add_f64 v[158:159], v[158:159], v[162:163]
	v_fma_f64 v[14:15], v[228:229], s[2:3], -v[10:11]
	v_add_f64 v[146:147], v[146:147], v[158:159]
	v_add_f64 v[20:21], v[14:15], v[146:147]
	v_fma_f64 v[146:147], v[224:225], s[28:29], -v[156:157]
	v_fma_f64 v[14:15], v[212:213], s[18:19], -v[16:17]
	;; [unrolled: 1-line block ×4, first 2 shown]
	v_add_f64 v[146:147], v[98:99], v[146:147]
	v_add_f64 v[144:145], v[144:145], v[146:147]
	;; [unrolled: 1-line block ×3, first 2 shown]
	v_fma_f64 v[12:13], v[208:209], s[16:17], -v[12:13]
	v_add_f64 v[14:15], v[14:15], v[16:17]
	v_fma_f64 v[8:9], v[206:207], s[14:15], -v[8:9]
	v_add_f64 v[12:13], v[12:13], v[14:15]
	v_fma_f64 v[6:7], v[204:205], s[10:11], -v[6:7]
	v_add_f64 v[8:9], v[8:9], v[12:13]
	v_fma_f64 v[4:5], v[202:203], s[2:3], -v[4:5]
	v_add_f64 v[6:7], v[6:7], v[8:9]
	v_fmac_f64_e32 v[176:177], s[28:29], v[244:245]
	v_add_f64 v[6:7], v[4:5], v[6:7]
	v_fmac_f64_e32 v[172:173], s[24:25], v[242:243]
	v_add_f64 v[4:5], v[96:97], v[176:177]
	v_fmac_f64_e32 v[168:169], s[22:23], v[240:241]
	v_add_f64 v[4:5], v[172:173], v[4:5]
	v_fmac_f64_e32 v[164:165], s[18:19], v[236:237]
	v_add_f64 v[4:5], v[168:169], v[4:5]
	v_fmac_f64_e32 v[160:161], s[16:17], v[234:235]
	v_add_f64 v[4:5], v[164:165], v[4:5]
	v_add_f64 v[4:5], v[160:161], v[4:5]
	v_mul_f64 v[160:161], v[200:201], s[30:31]
	v_fmac_f64_e32 v[150:151], s[14:15], v[232:233]
	s_mov_b32 s43, 0xbfefdd0d
	s_mov_b32 s42, s48
	v_mul_f64 v[156:157], v[246:247], s[36:37]
	v_fma_f64 v[162:163], s[22:23], v[224:225], v[160:161]
	v_add_f64 v[4:5], v[150:151], v[4:5]
	s_mov_b32 s55, 0x3fe9895b
	s_mov_b32 s54, s26
	v_mul_f64 v[150:151], v[238:239], s[42:43]
	v_fma_f64 v[158:159], s[14:15], v[220:221], v[156:157]
	v_add_f64 v[162:163], v[98:99], v[162:163]
	v_mul_f64 v[178:179], v[152:153], s[30:31]
	s_mov_b32 s41, 0xbfd71e95
	s_mov_b32 s40, s38
	v_mul_f64 v[148:149], v[226:227], s[54:55]
	v_fma_f64 v[146:147], s[2:3], v[216:217], v[150:151]
	v_add_f64 v[158:159], v[158:159], v[162:163]
	v_mul_f64 v[174:175], v[2:3], s[36:37]
	v_fma_f64 v[180:181], v[244:245], s[22:23], -v[178:179]
	v_fmac_f64_e32 v[18:19], s[10:11], v[230:231]
	v_mul_f64 v[16:17], v[222:223], s[40:41]
	v_fma_f64 v[144:145], s[16:17], v[212:213], v[148:149]
	v_add_f64 v[146:147], v[146:147], v[158:159]
	v_mul_f64 v[170:171], v[0:1], s[42:43]
	v_fma_f64 v[176:177], v[242:243], s[14:15], -v[174:175]
	v_add_f64 v[180:181], v[96:97], v[180:181]
	v_fmac_f64_e32 v[10:11], s[2:3], v[228:229]
	v_add_f64 v[4:5], v[18:19], v[4:5]
	v_mul_f64 v[12:13], v[218:219], s[34:35]
	v_fma_f64 v[18:19], s[24:25], v[208:209], v[16:17]
	v_add_f64 v[144:145], v[144:145], v[146:147]
	v_mul_f64 v[166:167], v[196:197], s[54:55]
	v_fma_f64 v[172:173], v[240:241], s[2:3], -v[170:171]
	v_add_f64 v[176:177], v[176:177], v[180:181]
	v_add_f64 v[4:5], v[10:11], v[4:5]
	v_accvgpr_write_b32 a53, v7
	v_mul_f64 v[8:9], v[214:215], s[44:45]
	v_fma_f64 v[14:15], s[28:29], v[206:207], v[12:13]
	v_add_f64 v[18:19], v[18:19], v[144:145]
	v_mul_f64 v[162:163], v[254:255], s[40:41]
	v_fma_f64 v[168:169], v[236:237], s[16:17], -v[166:167]
	v_add_f64 v[172:173], v[172:173], v[176:177]
	v_accvgpr_write_b32 a52, v6
	v_accvgpr_write_b32 a51, v5
	;; [unrolled: 1-line block ×3, first 2 shown]
	v_mul_f64 v[4:5], v[210:211], s[20:21]
	v_fma_f64 v[10:11], s[18:19], v[204:205], v[8:9]
	v_add_f64 v[14:15], v[14:15], v[18:19]
	v_mul_f64 v[158:159], v[252:253], s[34:35]
	v_fma_f64 v[164:165], v[234:235], s[24:25], -v[162:163]
	v_add_f64 v[168:169], v[168:169], v[172:173]
	v_accvgpr_write_b32 a49, v23
	v_fma_f64 v[6:7], s[10:11], v[202:203], v[4:5]
	v_add_f64 v[10:11], v[10:11], v[14:15]
	v_mul_f64 v[14:15], v[250:251], s[44:45]
	v_fma_f64 v[144:145], v[232:233], s[28:29], -v[158:159]
	v_add_f64 v[164:165], v[164:165], v[168:169]
	v_accvgpr_write_b32 a48, v22
	v_accvgpr_write_b32 a47, v21
	;; [unrolled: 1-line block ×3, first 2 shown]
	v_add_f64 v[20:21], v[6:7], v[10:11]
	v_mul_f64 v[6:7], v[248:249], s[20:21]
	v_fma_f64 v[18:19], v[230:231], s[18:19], -v[14:15]
	v_add_f64 v[144:145], v[144:145], v[164:165]
	v_fma_f64 v[10:11], v[228:229], s[10:11], -v[6:7]
	v_add_f64 v[18:19], v[18:19], v[144:145]
	v_add_f64 v[18:19], v[10:11], v[18:19]
	v_accvgpr_write_b32 a57, v21
	v_accvgpr_write_b32 a56, v20
	;; [unrolled: 1-line block ×4, first 2 shown]
	v_fma_f64 v[18:19], v[216:217], s[2:3], -v[150:151]
	v_fma_f64 v[150:151], v[224:225], s[22:23], -v[160:161]
	;; [unrolled: 1-line block ×6, first 2 shown]
	v_add_f64 v[150:151], v[98:99], v[150:151]
	v_add_f64 v[148:149], v[148:149], v[150:151]
	;; [unrolled: 1-line block ×5, first 2 shown]
	v_fma_f64 v[8:9], v[204:205], s[18:19], -v[8:9]
	v_add_f64 v[10:11], v[10:11], v[12:13]
	v_fma_f64 v[4:5], v[202:203], s[10:11], -v[4:5]
	v_add_f64 v[8:9], v[8:9], v[10:11]
	v_fmac_f64_e32 v[178:179], s[22:23], v[244:245]
	v_add_f64 v[8:9], v[4:5], v[8:9]
	v_fmac_f64_e32 v[174:175], s[14:15], v[242:243]
	;; [unrolled: 2-line block ×4, first 2 shown]
	v_add_f64 v[4:5], v[170:171], v[4:5]
	s_mov_b32 s53, 0x3feec746
	s_mov_b32 s52, s20
	v_mul_f64 v[168:169], v[200:201], s[26:27]
	v_fmac_f64_e32 v[162:163], s[24:25], v[234:235]
	v_add_f64 v[4:5], v[166:167], v[4:5]
	v_mul_f64 v[166:167], v[246:247], s[52:53]
	v_fma_f64 v[170:171], s[16:17], v[224:225], v[168:169]
	v_fmac_f64_e32 v[158:159], s[28:29], v[232:233]
	v_add_f64 v[4:5], v[162:163], v[4:5]
	v_mul_f64 v[164:165], v[238:239], s[40:41]
	v_fma_f64 v[162:163], s[10:11], v[220:221], v[166:167]
	v_add_f64 v[170:171], v[98:99], v[170:171]
	v_mul_f64 v[186:187], v[152:153], s[26:27]
	v_fmac_f64_e32 v[14:15], s[18:19], v[230:231]
	v_add_f64 v[4:5], v[158:159], v[4:5]
	v_mul_f64 v[156:157], v[226:227], s[30:31]
	v_fma_f64 v[160:161], s[24:25], v[216:217], v[164:165]
	v_add_f64 v[162:163], v[162:163], v[170:171]
	v_mul_f64 v[182:183], v[2:3], s[52:53]
	v_fma_f64 v[188:189], v[244:245], s[16:17], -v[186:187]
	v_fmac_f64_e32 v[6:7], s[10:11], v[228:229]
	v_add_f64 v[4:5], v[14:15], v[4:5]
	s_mov_b32 s47, 0xbfe58eea
	s_mov_b32 s46, s44
	v_mul_f64 v[16:17], v[222:223], s[48:49]
	v_fma_f64 v[158:159], s[22:23], v[212:213], v[156:157]
	v_add_f64 v[160:161], v[160:161], v[162:163]
	v_mul_f64 v[178:179], v[0:1], s[40:41]
	v_fma_f64 v[184:185], v[242:243], s[10:11], -v[182:183]
	v_add_f64 v[188:189], v[96:97], v[188:189]
	v_add_f64 v[6:7], v[6:7], v[4:5]
	v_accvgpr_write_b32 a61, v9
	v_mul_f64 v[12:13], v[218:219], s[46:47]
	v_fma_f64 v[18:19], s[2:3], v[208:209], v[16:17]
	v_add_f64 v[158:159], v[158:159], v[160:161]
	v_mul_f64 v[174:175], v[196:197], s[30:31]
	v_fma_f64 v[180:181], v[240:241], s[24:25], -v[178:179]
	v_add_f64 v[184:185], v[184:185], v[188:189]
	v_accvgpr_write_b32 a60, v8
	v_accvgpr_write_b32 a59, v7
	;; [unrolled: 1-line block ×3, first 2 shown]
	v_mul_f64 v[8:9], v[214:215], s[34:35]
	v_fma_f64 v[14:15], s[18:19], v[206:207], v[12:13]
	v_add_f64 v[18:19], v[18:19], v[158:159]
	v_mul_f64 v[170:171], v[254:255], s[48:49]
	v_fma_f64 v[176:177], v[236:237], s[22:23], -v[174:175]
	v_add_f64 v[180:181], v[180:181], v[184:185]
	v_mul_f64 v[4:5], v[210:211], s[36:37]
	v_fma_f64 v[10:11], s[28:29], v[204:205], v[8:9]
	v_add_f64 v[14:15], v[14:15], v[18:19]
	v_mul_f64 v[158:159], v[252:253], s[46:47]
	v_fma_f64 v[172:173], v[234:235], s[2:3], -v[170:171]
	v_add_f64 v[176:177], v[176:177], v[180:181]
	v_fma_f64 v[6:7], s[14:15], v[202:203], v[4:5]
	v_add_f64 v[10:11], v[10:11], v[14:15]
	v_mul_f64 v[14:15], v[250:251], s[34:35]
	v_fma_f64 v[160:161], v[232:233], s[18:19], -v[158:159]
	v_add_f64 v[172:173], v[172:173], v[176:177]
	v_add_f64 v[162:163], v[6:7], v[10:11]
	v_mul_f64 v[6:7], v[248:249], s[36:37]
	v_fma_f64 v[18:19], v[230:231], s[28:29], -v[14:15]
	v_add_f64 v[160:161], v[160:161], v[172:173]
	v_fma_f64 v[10:11], v[228:229], s[14:15], -v[6:7]
	v_add_f64 v[18:19], v[18:19], v[160:161]
	v_add_f64 v[160:161], v[10:11], v[18:19]
	v_fma_f64 v[18:19], v[216:217], s[24:25], -v[164:165]
	v_fma_f64 v[164:165], v[224:225], s[16:17], -v[168:169]
	;; [unrolled: 1-line block ×6, first 2 shown]
	v_add_f64 v[164:165], v[98:99], v[164:165]
	v_add_f64 v[156:157], v[156:157], v[164:165]
	;; [unrolled: 1-line block ×5, first 2 shown]
	v_fma_f64 v[8:9], v[204:205], s[28:29], -v[8:9]
	v_add_f64 v[10:11], v[10:11], v[12:13]
	v_fma_f64 v[4:5], v[202:203], s[14:15], -v[4:5]
	v_add_f64 v[8:9], v[8:9], v[10:11]
	v_fmac_f64_e32 v[186:187], s[16:17], v[244:245]
	v_add_f64 v[166:167], v[4:5], v[8:9]
	v_fmac_f64_e32 v[182:183], s[10:11], v[242:243]
	;; [unrolled: 2-line block ×4, first 2 shown]
	v_add_f64 v[4:5], v[178:179], v[4:5]
	s_mov_b32 s57, 0x3fe0d888
	s_mov_b32 s56, s30
	v_mul_f64 v[176:177], v[200:201], s[20:21]
	v_fmac_f64_e32 v[170:171], s[2:3], v[234:235]
	v_add_f64 v[4:5], v[174:175], v[4:5]
	v_mul_f64 v[174:175], v[246:247], s[56:57]
	v_fma_f64 v[178:179], s[10:11], v[224:225], v[176:177]
	v_add_f64 v[4:5], v[170:171], v[4:5]
	s_mov_b32 s51, 0xbfeca52d
	s_mov_b32 s50, s36
	v_mul_f64 v[172:173], v[238:239], s[44:45]
	v_fma_f64 v[170:171], s[22:23], v[220:221], v[174:175]
	v_add_f64 v[178:179], v[98:99], v[178:179]
	v_mul_f64 v[194:195], v[152:153], s[20:21]
	v_fmac_f64_e32 v[158:159], s[18:19], v[232:233]
	v_mul_f64 v[156:157], v[226:227], s[50:51]
	v_fma_f64 v[168:169], s[18:19], v[216:217], v[172:173]
	v_add_f64 v[170:171], v[170:171], v[178:179]
	v_mul_f64 v[190:191], v[2:3], s[56:57]
	v_fma_f64 v[144:145], v[244:245], s[10:11], -v[194:195]
	v_add_f64 v[4:5], v[158:159], v[4:5]
	v_mul_f64 v[16:17], v[222:223], s[34:35]
	v_fma_f64 v[158:159], s[14:15], v[212:213], v[156:157]
	v_add_f64 v[168:169], v[168:169], v[170:171]
	v_mul_f64 v[186:187], v[0:1], s[44:45]
	v_fma_f64 v[192:193], v[242:243], s[22:23], -v[190:191]
	v_add_f64 v[144:145], v[96:97], v[144:145]
	v_fmac_f64_e32 v[14:15], s[28:29], v[230:231]
	v_mul_f64 v[12:13], v[218:219], s[48:49]
	v_fma_f64 v[18:19], s[28:29], v[208:209], v[16:17]
	v_add_f64 v[158:159], v[158:159], v[168:169]
	v_mul_f64 v[182:183], v[196:197], s[50:51]
	v_fma_f64 v[188:189], v[240:241], s[18:19], -v[186:187]
	v_add_f64 v[144:145], v[192:193], v[144:145]
	v_fmac_f64_e32 v[6:7], s[14:15], v[228:229]
	v_add_f64 v[4:5], v[14:15], v[4:5]
	v_mul_f64 v[8:9], v[214:215], s[40:41]
	v_fma_f64 v[14:15], s[2:3], v[206:207], v[12:13]
	v_add_f64 v[18:19], v[18:19], v[158:159]
	v_mul_f64 v[178:179], v[254:255], s[34:35]
	v_fma_f64 v[184:185], v[236:237], s[14:15], -v[182:183]
	v_add_f64 v[144:145], v[188:189], v[144:145]
	v_add_f64 v[164:165], v[6:7], v[4:5]
	v_mul_f64 v[4:5], v[210:211], s[26:27]
	v_fma_f64 v[10:11], s[24:25], v[204:205], v[8:9]
	v_add_f64 v[14:15], v[14:15], v[18:19]
	v_mul_f64 v[158:159], v[252:253], s[48:49]
	v_fma_f64 v[180:181], v[234:235], s[28:29], -v[178:179]
	v_add_f64 v[144:145], v[184:185], v[144:145]
	v_fma_f64 v[6:7], s[16:17], v[202:203], v[4:5]
	v_add_f64 v[10:11], v[10:11], v[14:15]
	v_mul_f64 v[14:15], v[250:251], s[40:41]
	v_fma_f64 v[168:169], v[232:233], s[2:3], -v[158:159]
	v_add_f64 v[144:145], v[180:181], v[144:145]
	v_add_f64 v[170:171], v[6:7], v[10:11]
	v_mul_f64 v[6:7], v[248:249], s[26:27]
	v_fma_f64 v[18:19], v[230:231], s[24:25], -v[14:15]
	v_add_f64 v[144:145], v[168:169], v[144:145]
	v_fma_f64 v[146:147], v[224:225], s[10:11], -v[176:177]
	v_fma_f64 v[10:11], v[228:229], s[16:17], -v[6:7]
	v_add_f64 v[18:19], v[18:19], v[144:145]
	v_fma_f64 v[144:145], v[220:221], s[22:23], -v[174:175]
	v_add_f64 v[146:147], v[98:99], v[146:147]
	v_add_f64 v[168:169], v[10:11], v[18:19]
	v_fma_f64 v[18:19], v[216:217], s[18:19], -v[172:173]
	v_add_f64 v[144:145], v[144:145], v[146:147]
	v_fma_f64 v[10:11], v[206:207], s[2:3], -v[12:13]
	v_fma_f64 v[12:13], v[208:209], s[28:29], -v[16:17]
	;; [unrolled: 1-line block ×3, first 2 shown]
	v_add_f64 v[18:19], v[18:19], v[144:145]
	v_add_f64 v[16:17], v[16:17], v[18:19]
	v_add_f64 v[12:13], v[12:13], v[16:17]
	v_fma_f64 v[8:9], v[204:205], s[24:25], -v[8:9]
	v_add_f64 v[10:11], v[10:11], v[12:13]
	v_fma_f64 v[4:5], v[202:203], s[16:17], -v[4:5]
	v_add_f64 v[8:9], v[8:9], v[10:11]
	v_fmac_f64_e32 v[194:195], s[10:11], v[244:245]
	v_add_f64 v[174:175], v[4:5], v[8:9]
	v_fmac_f64_e32 v[190:191], s[22:23], v[242:243]
	;; [unrolled: 2-line block ×5, first 2 shown]
	v_add_f64 v[4:5], v[182:183], v[4:5]
	v_mul_f64 v[182:183], v[200:201], s[42:43]
	v_add_f64 v[4:5], v[178:179], v[4:5]
	v_mul_f64 v[180:181], v[246:247], s[34:35]
	v_fma_f64 v[178:179], s[2:3], v[224:225], v[182:183]
	v_fmac_f64_e32 v[158:159], s[2:3], v[232:233]
	v_mul_f64 v[156:157], v[238:239], s[52:53]
	v_fma_f64 v[176:177], s[28:29], v[220:221], v[180:181]
	v_add_f64 v[178:179], v[98:99], v[178:179]
	v_mul_f64 v[22:23], v[152:153], s[42:43]
	v_add_f64 v[4:5], v[158:159], v[4:5]
	v_mul_f64 v[144:145], v[226:227], s[38:39]
	v_fma_f64 v[158:159], s[10:11], v[216:217], v[156:157]
	v_add_f64 v[176:177], v[176:177], v[178:179]
	v_mul_f64 v[194:195], v[2:3], s[34:35]
	v_fma_f64 v[148:149], v[244:245], s[2:3], -v[22:23]
	v_mul_f64 v[16:17], v[222:223], s[50:51]
	v_fma_f64 v[146:147], s[24:25], v[212:213], v[144:145]
	v_add_f64 v[158:159], v[158:159], v[176:177]
	v_mul_f64 v[190:191], v[0:1], s[52:53]
	v_fma_f64 v[20:21], v[242:243], s[28:29], -v[194:195]
	v_add_f64 v[148:149], v[96:97], v[148:149]
	v_fmac_f64_e32 v[14:15], s[24:25], v[230:231]
	v_mul_f64 v[12:13], v[218:219], s[30:31]
	v_fma_f64 v[18:19], s[14:15], v[208:209], v[16:17]
	v_add_f64 v[146:147], v[146:147], v[158:159]
	v_mul_f64 v[186:187], v[196:197], s[38:39]
	v_fma_f64 v[192:193], v[240:241], s[10:11], -v[190:191]
	v_add_f64 v[20:21], v[20:21], v[148:149]
	v_fmac_f64_e32 v[6:7], s[16:17], v[228:229]
	v_add_f64 v[4:5], v[14:15], v[4:5]
	v_mul_f64 v[8:9], v[214:215], s[54:55]
	v_fma_f64 v[14:15], s[22:23], v[206:207], v[12:13]
	v_add_f64 v[18:19], v[18:19], v[146:147]
	v_mul_f64 v[184:185], v[254:255], s[50:51]
	v_fma_f64 v[188:189], v[236:237], s[24:25], -v[186:187]
	v_add_f64 v[20:21], v[192:193], v[20:21]
	v_add_f64 v[172:173], v[6:7], v[4:5]
	v_mul_f64 v[4:5], v[210:211], s[44:45]
	v_fma_f64 v[10:11], s[16:17], v[204:205], v[8:9]
	v_add_f64 v[14:15], v[14:15], v[18:19]
	v_mul_f64 v[146:147], v[252:253], s[30:31]
	v_fma_f64 v[176:177], v[234:235], s[14:15], -v[184:185]
	v_add_f64 v[20:21], v[188:189], v[20:21]
	v_fma_f64 v[6:7], s[18:19], v[202:203], v[4:5]
	v_add_f64 v[10:11], v[10:11], v[14:15]
	v_mul_f64 v[14:15], v[250:251], s[54:55]
	v_fma_f64 v[158:159], v[232:233], s[22:23], -v[146:147]
	v_add_f64 v[20:21], v[176:177], v[20:21]
	v_add_f64 v[178:179], v[6:7], v[10:11]
	v_mul_f64 v[6:7], v[248:249], s[44:45]
	v_fma_f64 v[18:19], v[230:231], s[16:17], -v[14:15]
	v_add_f64 v[20:21], v[158:159], v[20:21]
	v_fma_f64 v[10:11], v[228:229], s[18:19], -v[6:7]
	v_add_f64 v[18:19], v[18:19], v[20:21]
	v_add_f64 v[176:177], v[10:11], v[18:19]
	v_fma_f64 v[10:11], v[206:207], s[22:23], -v[12:13]
	v_fma_f64 v[12:13], v[208:209], s[14:15], -v[16:17]
	;; [unrolled: 1-line block ×5, first 2 shown]
	v_add_f64 v[144:145], v[98:99], v[144:145]
	v_fma_f64 v[18:19], v[216:217], s[10:11], -v[156:157]
	v_add_f64 v[20:21], v[20:21], v[144:145]
	v_add_f64 v[18:19], v[18:19], v[20:21]
	;; [unrolled: 1-line block ×4, first 2 shown]
	v_fma_f64 v[8:9], v[204:205], s[16:17], -v[8:9]
	v_add_f64 v[10:11], v[10:11], v[12:13]
	v_fma_f64 v[4:5], v[202:203], s[18:19], -v[4:5]
	v_add_f64 v[8:9], v[8:9], v[10:11]
	v_fmac_f64_e32 v[22:23], s[2:3], v[244:245]
	v_add_f64 v[182:183], v[4:5], v[8:9]
	v_fmac_f64_e32 v[194:195], s[28:29], v[242:243]
	v_add_f64 v[4:5], v[96:97], v[22:23]
	v_fmac_f64_e32 v[190:191], s[10:11], v[240:241]
	v_add_f64 v[4:5], v[194:195], v[4:5]
	v_fmac_f64_e32 v[186:187], s[24:25], v[236:237]
	v_add_f64 v[4:5], v[190:191], v[4:5]
	v_mul_f64 v[156:157], v[200:201], s[50:51]
	v_fmac_f64_e32 v[184:185], s[14:15], v[234:235]
	v_add_f64 v[4:5], v[186:187], v[4:5]
	s_mov_b32 s49, 0x3fc7851a
	s_mov_b32 s48, s34
	v_mul_f64 v[148:149], v[246:247], s[26:27]
	v_fma_f64 v[158:159], s[14:15], v[224:225], v[156:157]
	v_fmac_f64_e32 v[146:147], s[22:23], v[232:233]
	v_add_f64 v[4:5], v[184:185], v[4:5]
	v_mul_f64 v[144:145], v[238:239], s[48:49]
	v_fma_f64 v[150:151], s[16:17], v[220:221], v[148:149]
	v_add_f64 v[158:159], v[98:99], v[158:159]
	v_mul_f64 v[28:29], v[152:153], s[50:51]
	v_add_f64 v[4:5], v[146:147], v[4:5]
	v_mul_f64 v[20:21], v[226:227], s[52:53]
	v_fma_f64 v[146:147], s[28:29], v[216:217], v[144:145]
	v_add_f64 v[150:151], v[150:151], v[158:159]
	v_mul_f64 v[24:25], v[2:3], s[26:27]
	v_fma_f64 v[30:31], v[244:245], s[14:15], -v[28:29]
	v_mul_f64 v[16:17], v[222:223], s[44:45]
	v_fma_f64 v[22:23], s[10:11], v[212:213], v[20:21]
	v_add_f64 v[146:147], v[146:147], v[150:151]
	v_mul_f64 v[190:191], v[0:1], s[48:49]
	v_fma_f64 v[26:27], v[242:243], s[16:17], -v[24:25]
	v_add_f64 v[30:31], v[96:97], v[30:31]
	v_fmac_f64_e32 v[14:15], s[16:17], v[230:231]
	v_mul_f64 v[12:13], v[218:219], s[40:41]
	v_fma_f64 v[18:19], s[18:19], v[208:209], v[16:17]
	v_add_f64 v[22:23], v[22:23], v[146:147]
	v_mul_f64 v[188:189], v[196:197], s[52:53]
	v_fma_f64 v[192:193], v[240:241], s[28:29], -v[190:191]
	v_add_f64 v[26:27], v[26:27], v[30:31]
	v_fmac_f64_e32 v[6:7], s[18:19], v[228:229]
	v_add_f64 v[4:5], v[14:15], v[4:5]
	v_mul_f64 v[8:9], v[214:215], s[42:43]
	v_fma_f64 v[14:15], s[24:25], v[206:207], v[12:13]
	v_add_f64 v[18:19], v[18:19], v[22:23]
	v_mul_f64 v[150:151], v[254:255], s[44:45]
	v_fma_f64 v[184:185], v[236:237], s[10:11], -v[188:189]
	v_add_f64 v[26:27], v[192:193], v[26:27]
	v_add_f64 v[180:181], v[6:7], v[4:5]
	v_mul_f64 v[4:5], v[210:211], s[30:31]
	v_fma_f64 v[10:11], s[2:3], v[204:205], v[8:9]
	v_add_f64 v[14:15], v[14:15], v[18:19]
	v_mul_f64 v[22:23], v[252:253], s[40:41]
	v_fma_f64 v[158:159], v[234:235], s[18:19], -v[150:151]
	v_add_f64 v[26:27], v[184:185], v[26:27]
	v_fma_f64 v[6:7], s[22:23], v[202:203], v[4:5]
	v_add_f64 v[10:11], v[10:11], v[14:15]
	v_mul_f64 v[14:15], v[250:251], s[42:43]
	v_fma_f64 v[146:147], v[232:233], s[24:25], -v[22:23]
	v_add_f64 v[26:27], v[158:159], v[26:27]
	v_add_f64 v[186:187], v[6:7], v[10:11]
	v_mul_f64 v[6:7], v[248:249], s[30:31]
	v_fma_f64 v[18:19], v[230:231], s[2:3], -v[14:15]
	v_add_f64 v[26:27], v[146:147], v[26:27]
	v_fma_f64 v[10:11], v[228:229], s[22:23], -v[6:7]
	v_add_f64 v[18:19], v[18:19], v[26:27]
	;; [unrolled: 2-line block ×3, first 2 shown]
	v_fma_f64 v[10:11], v[206:207], s[24:25], -v[12:13]
	v_fma_f64 v[12:13], v[208:209], s[18:19], -v[16:17]
	;; [unrolled: 1-line block ×4, first 2 shown]
	v_add_f64 v[26:27], v[98:99], v[26:27]
	v_fma_f64 v[18:19], v[216:217], s[28:29], -v[144:145]
	v_add_f64 v[20:21], v[20:21], v[26:27]
	v_add_f64 v[18:19], v[18:19], v[20:21]
	;; [unrolled: 1-line block ×4, first 2 shown]
	v_fma_f64 v[8:9], v[204:205], s[2:3], -v[8:9]
	v_add_f64 v[10:11], v[10:11], v[12:13]
	v_fma_f64 v[4:5], v[202:203], s[22:23], -v[4:5]
	v_add_f64 v[8:9], v[8:9], v[10:11]
	v_fmac_f64_e32 v[28:29], s[14:15], v[244:245]
	v_add_f64 v[194:195], v[4:5], v[8:9]
	v_fmac_f64_e32 v[24:25], s[16:17], v[242:243]
	;; [unrolled: 2-line block ×3, first 2 shown]
	v_add_f64 v[4:5], v[24:25], v[4:5]
	v_mul_f64 v[144:145], v[200:201], s[46:47]
	v_fmac_f64_e32 v[188:189], s[10:11], v[236:237]
	v_add_f64 v[4:5], v[190:191], v[4:5]
	v_mul_f64 v[28:29], v[246:247], s[42:43]
	v_fma_f64 v[146:147], s[18:19], v[224:225], v[144:145]
	v_accvgpr_write_b32 a4, v36
	v_fmac_f64_e32 v[150:151], s[18:19], v[234:235]
	v_add_f64 v[4:5], v[188:189], v[4:5]
	v_mul_f64 v[24:25], v[238:239], s[26:27]
	v_fma_f64 v[30:31], s[2:3], v[220:221], v[28:29]
	v_add_f64 v[146:147], v[98:99], v[146:147]
	v_accvgpr_write_b32 a8, v32
	v_accvgpr_write_b32 a5, v37
	;; [unrolled: 1-line block ×4, first 2 shown]
	v_mul_f64 v[36:37], v[152:153], s[46:47]
	v_fmac_f64_e32 v[22:23], s[24:25], v[232:233]
	v_add_f64 v[4:5], v[150:151], v[4:5]
	v_mul_f64 v[20:21], v[226:227], s[34:35]
	v_fma_f64 v[26:27], s[16:17], v[216:217], v[24:25]
	v_add_f64 v[30:31], v[30:31], v[146:147]
	v_accvgpr_write_b32 a9, v33
	v_accvgpr_write_b32 a10, v34
	;; [unrolled: 1-line block ×3, first 2 shown]
	v_mul_f64 v[32:33], v[2:3], s[42:43]
	v_fma_f64 v[38:39], v[244:245], s[18:19], -v[36:37]
	v_add_f64 v[4:5], v[22:23], v[4:5]
	v_mul_f64 v[16:17], v[222:223], s[56:57]
	v_fma_f64 v[22:23], s[28:29], v[212:213], v[20:21]
	v_add_f64 v[26:27], v[26:27], v[30:31]
	v_mul_f64 v[156:157], v[0:1], s[26:27]
	v_fma_f64 v[34:35], v[242:243], s[2:3], -v[32:33]
	v_add_f64 v[38:39], v[96:97], v[38:39]
	v_fmac_f64_e32 v[14:15], s[2:3], v[230:231]
	v_mul_f64 v[12:13], v[218:219], s[52:53]
	v_fma_f64 v[18:19], s[22:23], v[208:209], v[16:17]
	v_add_f64 v[22:23], v[22:23], v[26:27]
	v_mul_f64 v[148:149], v[196:197], s[34:35]
	v_fma_f64 v[158:159], v[240:241], s[16:17], -v[156:157]
	v_add_f64 v[34:35], v[34:35], v[38:39]
	v_fmac_f64_e32 v[6:7], s[22:23], v[228:229]
	v_add_f64 v[4:5], v[14:15], v[4:5]
	v_mul_f64 v[8:9], v[214:215], s[36:37]
	v_fma_f64 v[14:15], s[10:11], v[206:207], v[12:13]
	v_add_f64 v[18:19], v[18:19], v[22:23]
	v_mul_f64 v[30:31], v[254:255], s[56:57]
	v_fma_f64 v[150:151], v[236:237], s[28:29], -v[148:149]
	v_add_f64 v[34:35], v[158:159], v[34:35]
	v_add_f64 v[192:193], v[6:7], v[4:5]
	v_mul_f64 v[4:5], v[210:211], s[38:39]
	v_fma_f64 v[10:11], s[14:15], v[204:205], v[8:9]
	v_add_f64 v[14:15], v[14:15], v[18:19]
	v_mul_f64 v[22:23], v[252:253], s[52:53]
	v_fma_f64 v[146:147], v[234:235], s[22:23], -v[30:31]
	v_add_f64 v[34:35], v[150:151], v[34:35]
	v_fma_f64 v[6:7], s[24:25], v[202:203], v[4:5]
	v_add_f64 v[10:11], v[10:11], v[14:15]
	v_mul_f64 v[14:15], v[250:251], s[36:37]
	v_fma_f64 v[26:27], v[232:233], s[10:11], -v[22:23]
	v_add_f64 v[34:35], v[146:147], v[34:35]
	v_add_f64 v[190:191], v[6:7], v[10:11]
	v_mul_f64 v[6:7], v[248:249], s[38:39]
	v_fma_f64 v[18:19], v[230:231], s[14:15], -v[14:15]
	v_add_f64 v[26:27], v[26:27], v[34:35]
	v_fma_f64 v[10:11], v[228:229], s[24:25], -v[6:7]
	v_add_f64 v[18:19], v[18:19], v[26:27]
	v_add_f64 v[188:189], v[10:11], v[18:19]
	v_fma_f64 v[18:19], v[216:217], s[16:17], -v[24:25]
	v_fma_f64 v[24:25], v[224:225], s[18:19], -v[144:145]
	;; [unrolled: 1-line block ×6, first 2 shown]
	v_add_f64 v[24:25], v[98:99], v[24:25]
	v_add_f64 v[20:21], v[20:21], v[24:25]
	;; [unrolled: 1-line block ×5, first 2 shown]
	v_fma_f64 v[8:9], v[204:205], s[14:15], -v[8:9]
	v_add_f64 v[10:11], v[10:11], v[12:13]
	v_fma_f64 v[4:5], v[202:203], s[24:25], -v[4:5]
	v_add_f64 v[8:9], v[8:9], v[10:11]
	v_fmac_f64_e32 v[36:37], s[18:19], v[244:245]
	v_add_f64 v[158:159], v[4:5], v[8:9]
	v_fmac_f64_e32 v[32:33], s[2:3], v[242:243]
	;; [unrolled: 2-line block ×4, first 2 shown]
	v_add_f64 v[4:5], v[156:157], v[4:5]
	v_mul_f64 v[32:33], v[200:201], s[40:41]
	v_fmac_f64_e32 v[30:31], s[22:23], v[234:235]
	v_add_f64 v[4:5], v[148:149], v[4:5]
	v_mul_f64 v[28:29], v[246:247], s[46:47]
	v_fma_f64 v[34:35], s[24:25], v[224:225], v[32:33]
	v_mul_f64 v[150:151], v[152:153], s[40:41]
	v_add_f64 v[4:5], v[30:31], v[4:5]
	v_mul_f64 v[24:25], v[238:239], s[50:51]
	v_fma_f64 v[30:31], s[18:19], v[220:221], v[28:29]
	v_add_f64 v[34:35], v[98:99], v[34:35]
	v_mul_f64 v[148:149], v[2:3], s[46:47]
	v_fma_f64 v[152:153], v[244:245], s[24:25], -v[150:151]
	v_fmac_f64_e32 v[22:23], s[10:11], v[232:233]
	v_mul_f64 v[20:21], v[226:227], s[42:43]
	v_fma_f64 v[26:27], s[14:15], v[216:217], v[24:25]
	v_add_f64 v[30:31], v[30:31], v[34:35]
	v_mul_f64 v[0:1], v[0:1], s[50:51]
	v_fma_f64 v[2:3], v[242:243], s[18:19], -v[148:149]
	v_add_f64 v[152:153], v[96:97], v[152:153]
	v_add_f64 v[4:5], v[22:23], v[4:5]
	v_mul_f64 v[16:17], v[222:223], s[20:21]
	v_fma_f64 v[22:23], s[2:3], v[212:213], v[20:21]
	v_add_f64 v[26:27], v[26:27], v[30:31]
	v_mul_f64 v[38:39], v[196:197], s[42:43]
	v_fma_f64 v[146:147], v[240:241], s[14:15], -v[0:1]
	v_add_f64 v[2:3], v[2:3], v[152:153]
	v_fmac_f64_e32 v[14:15], s[14:15], v[230:231]
	v_mul_f64 v[12:13], v[218:219], s[26:27]
	v_fma_f64 v[18:19], s[10:11], v[208:209], v[16:17]
	v_add_f64 v[22:23], v[22:23], v[26:27]
	v_mul_f64 v[34:35], v[254:255], s[20:21]
	v_fma_f64 v[144:145], v[236:237], s[2:3], -v[38:39]
	v_add_f64 v[2:3], v[146:147], v[2:3]
	v_fmac_f64_e32 v[6:7], s[24:25], v[228:229]
	v_add_f64 v[4:5], v[14:15], v[4:5]
	v_mul_f64 v[10:11], v[214:215], s[30:31]
	v_fma_f64 v[14:15], s[16:17], v[206:207], v[12:13]
	v_add_f64 v[18:19], v[18:19], v[22:23]
	v_mul_f64 v[26:27], v[252:253], s[26:27]
	v_fma_f64 v[36:37], v[234:235], s[10:11], -v[34:35]
	v_add_f64 v[2:3], v[144:145], v[2:3]
	v_add_f64 v[156:157], v[6:7], v[4:5]
	v_mul_f64 v[8:9], v[210:211], s[34:35]
	v_fma_f64 v[6:7], s[22:23], v[204:205], v[10:11]
	v_add_f64 v[14:15], v[14:15], v[18:19]
	v_mul_f64 v[18:19], v[250:251], s[30:31]
	v_fma_f64 v[30:31], v[232:233], s[16:17], -v[26:27]
	v_add_f64 v[2:3], v[36:37], v[2:3]
	v_fma_f64 v[4:5], s[28:29], v[202:203], v[8:9]
	v_add_f64 v[6:7], v[6:7], v[14:15]
	v_mul_f64 v[14:15], v[248:249], s[34:35]
	v_fma_f64 v[22:23], v[230:231], s[22:23], -v[18:19]
	v_add_f64 v[2:3], v[30:31], v[2:3]
	v_add_f64 v[6:7], v[4:5], v[6:7]
	v_fma_f64 v[4:5], v[228:229], s[28:29], -v[14:15]
	v_add_f64 v[2:3], v[22:23], v[2:3]
	v_add_f64 v[4:5], v[4:5], v[2:3]
	v_fma_f64 v[2:3], v[202:203], s[28:29], -v[8:9]
	v_fma_f64 v[8:9], v[204:205], s[22:23], -v[10:11]
	;; [unrolled: 1-line block ×8, first 2 shown]
	v_add_f64 v[24:25], v[98:99], v[24:25]
	v_add_f64 v[22:23], v[22:23], v[24:25]
	;; [unrolled: 1-line block ×7, first 2 shown]
	v_fmac_f64_e32 v[150:151], s[24:25], v[244:245]
	v_add_f64 v[2:3], v[2:3], v[8:9]
	v_fmac_f64_e32 v[148:149], s[18:19], v[242:243]
	v_add_f64 v[8:9], v[96:97], v[150:151]
	;; [unrolled: 2-line block ×3, first 2 shown]
	v_add_f64 v[0:1], v[0:1], v[8:9]
	v_add_f64 v[8:9], v[98:99], v[102:103]
	;; [unrolled: 1-line block ×28, first 2 shown]
	v_fmac_f64_e32 v[38:39], s[2:3], v[236:237]
	v_add_f64 v[8:9], v[8:9], v[76:77]
	v_fmac_f64_e32 v[34:35], s[10:11], v[234:235]
	v_add_f64 v[0:1], v[38:39], v[0:1]
	v_add_f64 v[8:9], v[8:9], v[72:73]
	v_accvgpr_read_b32 v222, a0
	v_fmac_f64_e32 v[26:27], s[16:17], v[232:233]
	v_add_f64 v[0:1], v[34:35], v[0:1]
	v_add_f64 v[8:9], v[8:9], v[48:49]
	v_fmac_f64_e32 v[18:19], s[22:23], v[230:231]
	v_add_f64 v[0:1], v[26:27], v[0:1]
	v_add_f64 v[8:9], v[8:9], v[44:45]
	v_mul_lo_u16_e32 v12, 17, v222
	v_fmac_f64_e32 v[14:15], s[28:29], v[228:229]
	v_add_f64 v[0:1], v[18:19], v[0:1]
	v_add_f64 v[8:9], v[8:9], v[40:41]
	v_lshlrev_b32_e32 v12, 4, v12
	v_accvgpr_read_b32 v39, a7
	v_accvgpr_read_b32 v35, a11
	v_add_f64 v[0:1], v[14:15], v[0:1]
	v_accvgpr_read_b32 v79, a45
	v_accvgpr_read_b32 v75, a41
	;; [unrolled: 1-line block ×5, first 2 shown]
	ds_write_b128 v12, v[8:11]
	ds_write_b128 v12, v[0:3] offset:16
	ds_write_b128 v12, v[156:159] offset:32
	;; [unrolled: 1-line block ×5, first 2 shown]
	v_accvgpr_read_b32 v175, a35
	ds_write_b128 v12, v[164:167] offset:96
	v_accvgpr_read_b32 v167, a19
	ds_write_b128 v12, a[58:61] offset:112
	ds_write_b128 v12, a[50:53] offset:128
	;; [unrolled: 1-line block ×6, first 2 shown]
	v_accvgpr_read_b32 v171, a27
	v_accvgpr_read_b32 v153, a1
	v_mov_b32_e32 v152, v199
	v_accvgpr_read_b32 v38, a6
	v_accvgpr_read_b32 v37, a5
	v_accvgpr_read_b32 v36, a4
	v_accvgpr_read_b32 v34, a10
	v_accvgpr_read_b32 v33, a9
	v_accvgpr_read_b32 v32, a8
	v_accvgpr_read_b32 v78, a44
	v_accvgpr_read_b32 v77, a43
	v_accvgpr_read_b32 v76, a42
	v_accvgpr_read_b32 v74, a40
	v_accvgpr_read_b32 v73, a39
	v_accvgpr_read_b32 v72, a38
	v_accvgpr_read_b32 v50, a30
	v_accvgpr_read_b32 v49, a29
	v_accvgpr_read_b32 v48, a28
	v_accvgpr_read_b32 v46, a22
	v_accvgpr_read_b32 v45, a21
	v_accvgpr_read_b32 v44, a20
	v_accvgpr_read_b32 v42, a14
	v_accvgpr_read_b32 v41, a13
	v_accvgpr_read_b32 v40, a12
	v_accvgpr_read_b32 v158, a36
	v_accvgpr_read_b32 v157, a3
	v_accvgpr_read_b32 v156, a2
	v_accvgpr_read_b32 v174, a34
	v_accvgpr_read_b32 v173, a33
	v_accvgpr_read_b32 v172, a32
	v_accvgpr_read_b32 v166, a18
	v_accvgpr_read_b32 v165, a17
	v_accvgpr_read_b32 v164, a16
	v_accvgpr_read_b32 v170, a26
	v_accvgpr_read_b32 v169, a25
	v_accvgpr_read_b32 v168, a24
	ds_write_b128 v12, v[176:179] offset:208
	ds_write_b128 v12, v[184:187] offset:224
	;; [unrolled: 1-line block ×4, first 2 shown]
.LBB0_13:
	s_or_b64 exec, exec, s[0:1]
	s_waitcnt lgkmcnt(0)
	; wave barrier
	s_waitcnt lgkmcnt(0)
	ds_read_b128 v[0:3], v154
	ds_read_b128 v[4:7], v154 offset:816
	ds_read_b128 v[16:19], v154 offset:3264
	;; [unrolled: 1-line block ×11, first 2 shown]
	s_waitcnt lgkmcnt(9)
	v_mul_f64 v[22:23], v[174:175], v[18:19]
	v_fmac_f64_e32 v[22:23], v[172:173], v[16:17]
	v_mul_f64 v[16:17], v[174:175], v[16:17]
	v_fma_f64 v[24:25], v[172:173], v[18:19], -v[16:17]
	s_waitcnt lgkmcnt(7)
	v_mul_f64 v[16:17], v[50:51], v[100:101]
	v_fma_f64 v[28:29], v[48:49], v[102:103], -v[16:17]
	v_mul_f64 v[30:31], v[34:35], v[98:99]
	v_mul_f64 v[16:17], v[34:35], v[96:97]
	v_fmac_f64_e32 v[30:31], v[32:33], v[96:97]
	v_fma_f64 v[32:33], v[32:33], v[98:99], -v[16:17]
	s_waitcnt lgkmcnt(6)
	v_mul_f64 v[34:35], v[38:39], v[106:107]
	v_mul_f64 v[16:17], v[38:39], v[104:105]
	v_fmac_f64_e32 v[34:35], v[36:37], v[104:105]
	v_fma_f64 v[36:37], v[36:37], v[106:107], -v[16:17]
	s_waitcnt lgkmcnt(3)
	v_mul_f64 v[38:39], v[46:47], v[110:111]
	v_mul_f64 v[16:17], v[46:47], v[108:109]
	;; [unrolled: 1-line block ×3, first 2 shown]
	v_fmac_f64_e32 v[38:39], v[44:45], v[108:109]
	v_fma_f64 v[44:45], v[44:45], v[110:111], -v[16:17]
	s_waitcnt lgkmcnt(1)
	v_mul_f64 v[16:17], v[42:43], v[116:117]
	v_fmac_f64_e32 v[26:27], v[48:49], v[100:101]
	v_fma_f64 v[48:49], v[40:41], v[118:119], -v[16:17]
	v_mul_f64 v[16:17], v[170:171], v[112:113]
	v_fma_f64 v[96:97], v[168:169], v[114:115], -v[16:17]
	s_waitcnt lgkmcnt(0)
	v_mul_f64 v[16:17], v[166:167], v[120:121]
	v_add_f64 v[18:19], v[22:23], v[26:27]
	s_mov_b32 s2, 0xe8584caa
	v_fma_f64 v[100:101], v[164:165], v[122:123], -v[16:17]
	v_add_f64 v[16:17], v[0:1], v[22:23]
	v_fmac_f64_e32 v[0:1], -0.5, v[18:19]
	v_add_f64 v[18:19], v[24:25], -v[28:29]
	s_mov_b32 s3, 0xbfebb67a
	s_mov_b32 s1, 0x3febb67a
	;; [unrolled: 1-line block ×3, first 2 shown]
	v_fma_f64 v[20:21], s[2:3], v[18:19], v[0:1]
	v_fmac_f64_e32 v[0:1], s[0:1], v[18:19]
	v_add_f64 v[18:19], v[2:3], v[24:25]
	v_add_f64 v[24:25], v[24:25], v[28:29]
	;; [unrolled: 1-line block ×3, first 2 shown]
	v_fmac_f64_e32 v[2:3], -0.5, v[24:25]
	v_add_f64 v[24:25], v[22:23], -v[26:27]
	v_add_f64 v[26:27], v[30:31], v[34:35]
	v_mul_f64 v[46:47], v[42:43], v[118:119]
	v_fma_f64 v[22:23], s[0:1], v[24:25], v[2:3]
	v_fmac_f64_e32 v[2:3], s[2:3], v[24:25]
	v_add_f64 v[24:25], v[4:5], v[30:31]
	v_fmac_f64_e32 v[4:5], -0.5, v[26:27]
	v_add_f64 v[26:27], v[32:33], -v[36:37]
	v_fmac_f64_e32 v[46:47], v[40:41], v[116:117]
	v_add_f64 v[18:19], v[18:19], v[28:29]
	v_fma_f64 v[28:29], s[2:3], v[26:27], v[4:5]
	v_fmac_f64_e32 v[4:5], s[0:1], v[26:27]
	v_add_f64 v[26:27], v[6:7], v[32:33]
	v_add_f64 v[32:33], v[32:33], v[36:37]
	v_mul_f64 v[50:51], v[170:171], v[114:115]
	v_mul_f64 v[98:99], v[166:167], v[122:123]
	v_add_f64 v[24:25], v[24:25], v[34:35]
	v_fmac_f64_e32 v[6:7], -0.5, v[32:33]
	v_add_f64 v[32:33], v[30:31], -v[34:35]
	v_add_f64 v[34:35], v[38:39], v[46:47]
	v_fmac_f64_e32 v[50:51], v[168:169], v[112:113]
	v_fmac_f64_e32 v[98:99], v[164:165], v[120:121]
	v_fma_f64 v[30:31], s[0:1], v[32:33], v[6:7]
	v_fmac_f64_e32 v[6:7], s[2:3], v[32:33]
	v_add_f64 v[32:33], v[8:9], v[38:39]
	v_fmac_f64_e32 v[8:9], -0.5, v[34:35]
	v_add_f64 v[34:35], v[44:45], -v[48:49]
	v_add_f64 v[40:41], v[44:45], v[48:49]
	v_add_f64 v[26:27], v[26:27], v[36:37]
	v_fma_f64 v[36:37], s[2:3], v[34:35], v[8:9]
	v_fmac_f64_e32 v[8:9], s[0:1], v[34:35]
	v_add_f64 v[34:35], v[10:11], v[44:45]
	v_fmac_f64_e32 v[10:11], -0.5, v[40:41]
	v_add_f64 v[40:41], v[38:39], -v[46:47]
	v_add_f64 v[42:43], v[50:51], v[98:99]
	v_add_f64 v[32:33], v[32:33], v[46:47]
	;; [unrolled: 7-line block ×4, first 2 shown]
	v_fma_f64 v[46:47], s[0:1], v[48:49], v[14:15]
	v_fmac_f64_e32 v[14:15], s[2:3], v[48:49]
	s_waitcnt lgkmcnt(0)
	; wave barrier
	ds_write_b128 v152, v[16:19]
	ds_write_b128 v152, v[20:23] offset:272
	ds_write_b128 v152, v[0:3] offset:544
	ds_write_b128 v153, v[24:27]
	ds_write_b128 v153, v[28:31] offset:272
	ds_write_b128 v153, v[4:7] offset:544
	ds_write_b128 v157, v[32:35]
	ds_write_b128 v157, v[36:39] offset:272
	ds_write_b128 v157, v[8:11] offset:544
	ds_write_b128 v158, v[40:43]
	ds_write_b128 v158, v[44:47] offset:272
	ds_write_b128 v158, v[12:15] offset:544
	s_waitcnt lgkmcnt(0)
	; wave barrier
	s_waitcnt lgkmcnt(0)
	ds_read_b128 v[4:7], v154
	ds_read_b128 v[0:3], v154 offset:816
	ds_read_b128 v[8:11], v154 offset:1632
	;; [unrolled: 1-line block ×11, first 2 shown]
	s_waitcnt lgkmcnt(9)
	v_mul_f64 v[48:49], v[66:67], v[10:11]
	v_fmac_f64_e32 v[48:49], v[64:65], v[8:9]
	v_mul_f64 v[8:9], v[66:67], v[8:9]
	v_fma_f64 v[50:51], v[64:65], v[10:11], -v[8:9]
	s_waitcnt lgkmcnt(7)
	v_mul_f64 v[8:9], v[62:63], v[18:19]
	v_fmac_f64_e32 v[8:9], v[60:61], v[16:17]
	v_mul_f64 v[10:11], v[62:63], v[16:17]
	s_waitcnt lgkmcnt(5)
	v_mul_f64 v[16:17], v[58:59], v[26:27]
	v_fma_f64 v[10:11], v[60:61], v[18:19], -v[10:11]
	v_fmac_f64_e32 v[16:17], v[56:57], v[24:25]
	v_mul_f64 v[18:19], v[58:59], v[24:25]
	s_waitcnt lgkmcnt(3)
	v_mul_f64 v[24:25], v[54:55], v[34:35]
	v_fma_f64 v[18:19], v[56:57], v[26:27], -v[18:19]
	;; [unrolled: 5-line block ×3, first 2 shown]
	v_fmac_f64_e32 v[32:33], v[68:69], v[40:41]
	v_mul_f64 v[34:35], v[70:71], v[40:41]
	v_mul_f64 v[40:41], v[66:67], v[14:15]
	v_fmac_f64_e32 v[40:41], v[64:65], v[12:13]
	v_mul_f64 v[12:13], v[66:67], v[12:13]
	v_fma_f64 v[34:35], v[68:69], v[42:43], -v[34:35]
	v_fma_f64 v[42:43], v[64:65], v[14:15], -v[12:13]
	v_mul_f64 v[64:65], v[62:63], v[22:23]
	v_mul_f64 v[12:13], v[62:63], v[20:21]
	v_fmac_f64_e32 v[64:65], v[60:61], v[20:21]
	v_fma_f64 v[60:61], v[60:61], v[22:23], -v[12:13]
	v_mul_f64 v[62:63], v[58:59], v[30:31]
	v_mul_f64 v[12:13], v[58:59], v[28:29]
	v_fmac_f64_e32 v[62:63], v[56:57], v[28:29]
	;; [unrolled: 4-line block ×3, first 2 shown]
	v_fma_f64 v[36:37], v[52:53], v[38:39], -v[12:13]
	s_waitcnt lgkmcnt(0)
	v_mul_f64 v[38:39], v[70:71], v[46:47]
	v_mul_f64 v[12:13], v[70:71], v[44:45]
	v_fmac_f64_e32 v[38:39], v[68:69], v[44:45]
	v_fma_f64 v[44:45], v[68:69], v[46:47], -v[12:13]
	v_add_f64 v[12:13], v[4:5], v[8:9]
	v_add_f64 v[20:21], v[12:13], v[24:25]
	;; [unrolled: 1-line block ×3, first 2 shown]
	v_fmac_f64_e32 v[4:5], -0.5, v[12:13]
	v_add_f64 v[12:13], v[10:11], -v[26:27]
	v_fma_f64 v[22:23], s[2:3], v[12:13], v[4:5]
	v_fmac_f64_e32 v[4:5], s[0:1], v[12:13]
	v_add_f64 v[12:13], v[6:7], v[10:11]
	v_add_f64 v[10:11], v[10:11], v[26:27]
	v_fmac_f64_e32 v[6:7], -0.5, v[10:11]
	v_add_f64 v[8:9], v[8:9], -v[24:25]
	v_add_f64 v[46:47], v[12:13], v[26:27]
	v_fma_f64 v[26:27], s[0:1], v[8:9], v[6:7]
	v_fmac_f64_e32 v[6:7], s[2:3], v[8:9]
	v_add_f64 v[8:9], v[48:49], v[16:17]
	v_add_f64 v[24:25], v[8:9], v[32:33]
	;; [unrolled: 1-line block ×3, first 2 shown]
	v_fmac_f64_e32 v[48:49], -0.5, v[8:9]
	v_add_f64 v[8:9], v[18:19], -v[34:35]
	v_fma_f64 v[14:15], s[2:3], v[8:9], v[48:49]
	v_fmac_f64_e32 v[48:49], s[0:1], v[8:9]
	v_add_f64 v[8:9], v[50:51], v[18:19]
	v_add_f64 v[52:53], v[8:9], v[34:35]
	;; [unrolled: 1-line block ×3, first 2 shown]
	v_fmac_f64_e32 v[50:51], -0.5, v[8:9]
	v_add_f64 v[8:9], v[16:17], -v[32:33]
	v_fma_f64 v[18:19], s[0:1], v[8:9], v[50:51]
	v_mul_f64 v[32:33], v[18:19], s[2:3]
	v_fmac_f64_e32 v[32:33], 0.5, v[14:15]
	v_fmac_f64_e32 v[50:51], s[2:3], v[8:9]
	v_add_f64 v[8:9], v[20:21], v[24:25]
	v_add_f64 v[12:13], v[22:23], v[32:33]
	v_add_f64 v[20:21], v[20:21], -v[24:25]
	v_add_f64 v[24:25], v[22:23], -v[32:33]
	v_add_f64 v[32:33], v[0:1], v[64:65]
	v_add_f64 v[10:11], v[46:47], v[52:53]
	v_add_f64 v[22:23], v[46:47], -v[52:53]
	v_add_f64 v[46:47], v[32:33], v[30:31]
	v_add_f64 v[32:33], v[64:65], v[30:31]
	v_mul_f64 v[34:35], v[50:51], s[2:3]
	v_mul_f64 v[50:51], v[50:51], -0.5
	v_fmac_f64_e32 v[0:1], -0.5, v[32:33]
	v_add_f64 v[32:33], v[60:61], -v[36:37]
	v_fmac_f64_e32 v[34:35], -0.5, v[48:49]
	v_fmac_f64_e32 v[50:51], s[0:1], v[48:49]
	v_fma_f64 v[48:49], s[2:3], v[32:33], v[0:1]
	v_fmac_f64_e32 v[0:1], s[0:1], v[32:33]
	v_add_f64 v[32:33], v[2:3], v[60:61]
	v_mul_f64 v[54:55], v[18:19], 0.5
	v_add_f64 v[18:19], v[6:7], v[50:51]
	v_add_f64 v[6:7], v[6:7], -v[50:51]
	v_add_f64 v[50:51], v[32:33], v[36:37]
	v_add_f64 v[32:33], v[60:61], v[36:37]
	v_fmac_f64_e32 v[2:3], -0.5, v[32:33]
	v_add_f64 v[30:31], v[64:65], -v[30:31]
	v_fmac_f64_e32 v[54:55], s[0:1], v[14:15]
	v_fma_f64 v[52:53], s[0:1], v[30:31], v[2:3]
	v_fmac_f64_e32 v[2:3], s[2:3], v[30:31]
	v_add_f64 v[30:31], v[40:41], v[62:63]
	v_add_f64 v[14:15], v[26:27], v[54:55]
	v_add_f64 v[26:27], v[26:27], -v[54:55]
	v_add_f64 v[54:55], v[30:31], v[38:39]
	v_add_f64 v[30:31], v[62:63], v[38:39]
	v_fmac_f64_e32 v[40:41], -0.5, v[30:31]
	v_add_f64 v[30:31], v[28:29], -v[44:45]
	v_add_f64 v[16:17], v[4:5], v[34:35]
	v_add_f64 v[4:5], v[4:5], -v[34:35]
	v_fma_f64 v[34:35], s[2:3], v[30:31], v[40:41]
	v_fmac_f64_e32 v[40:41], s[0:1], v[30:31]
	v_add_f64 v[30:31], v[42:43], v[28:29]
	v_add_f64 v[28:29], v[28:29], v[44:45]
	v_fmac_f64_e32 v[42:43], -0.5, v[28:29]
	v_add_f64 v[28:29], v[62:63], -v[38:39]
	v_fma_f64 v[38:39], s[0:1], v[28:29], v[42:43]
	v_fmac_f64_e32 v[42:43], s[2:3], v[28:29]
	v_add_f64 v[56:57], v[30:31], v[44:45]
	v_mul_f64 v[44:45], v[38:39], s[2:3]
	v_mul_f64 v[58:59], v[42:43], s[2:3]
	v_mul_f64 v[60:61], v[38:39], 0.5
	v_mul_f64 v[62:63], v[42:43], -0.5
	v_fmac_f64_e32 v[44:45], 0.5, v[34:35]
	v_fmac_f64_e32 v[58:59], -0.5, v[40:41]
	v_fmac_f64_e32 v[60:61], s[0:1], v[34:35]
	v_fmac_f64_e32 v[62:63], s[0:1], v[40:41]
	v_add_f64 v[28:29], v[46:47], v[54:55]
	v_add_f64 v[32:33], v[48:49], v[44:45]
	;; [unrolled: 1-line block ×6, first 2 shown]
	v_add_f64 v[40:41], v[46:47], -v[54:55]
	v_add_f64 v[44:45], v[48:49], -v[44:45]
	;; [unrolled: 1-line block ×6, first 2 shown]
	s_waitcnt lgkmcnt(0)
	; wave barrier
	ds_write_b128 v154, v[8:11]
	ds_write_b128 v154, v[12:15] offset:816
	ds_write_b128 v154, v[16:19] offset:1632
	;; [unrolled: 1-line block ×11, first 2 shown]
	s_waitcnt lgkmcnt(0)
	; wave barrier
	s_waitcnt lgkmcnt(0)
	ds_read_b128 v[0:3], v154
	ds_read_b128 v[4:7], v154 offset:816
	ds_read_b128 v[8:11], v154 offset:4896
	;; [unrolled: 1-line block ×11, first 2 shown]
	s_waitcnt lgkmcnt(9)
	v_mul_f64 v[48:49], v[74:75], v[10:11]
	v_fmac_f64_e32 v[48:49], v[72:73], v[8:9]
	v_mul_f64 v[8:9], v[74:75], v[8:9]
	v_fma_f64 v[10:11], v[72:73], v[10:11], -v[8:9]
	s_waitcnt lgkmcnt(8)
	v_mul_f64 v[8:9], v[78:79], v[12:13]
	v_mul_f64 v[50:51], v[78:79], v[14:15]
	v_fma_f64 v[14:15], v[76:77], v[14:15], -v[8:9]
	s_waitcnt lgkmcnt(5)
	v_mul_f64 v[8:9], v[82:83], v[24:25]
	;; [unrolled: 4-line block ×5, first 2 shown]
	v_mul_f64 v[8:9], v[94:95], v[44:45]
	v_fmac_f64_e32 v[50:51], v[76:77], v[12:13]
	v_fmac_f64_e32 v[52:53], v[80:81], v[24:25]
	;; [unrolled: 1-line block ×5, first 2 shown]
	v_fma_f64 v[46:47], v[92:93], v[46:47], -v[8:9]
	v_add_f64 v[8:9], v[0:1], -v[48:49]
	v_add_f64 v[10:11], v[2:3], -v[10:11]
	v_fma_f64 v[0:1], v[0:1], 2.0, -v[8:9]
	v_fma_f64 v[2:3], v[2:3], 2.0, -v[10:11]
	v_add_f64 v[12:13], v[4:5], -v[50:51]
	v_add_f64 v[14:15], v[6:7], -v[14:15]
	;; [unrolled: 1-line block ×10, first 2 shown]
	v_fma_f64 v[4:5], v[4:5], 2.0, -v[12:13]
	v_fma_f64 v[6:7], v[6:7], 2.0, -v[14:15]
	;; [unrolled: 1-line block ×10, first 2 shown]
	ds_write_b128 v154, v[0:3]
	ds_write_b128 v154, v[8:11] offset:4896
	ds_write_b128 v154, v[4:7] offset:816
	;; [unrolled: 1-line block ×11, first 2 shown]
	s_waitcnt lgkmcnt(0)
	; wave barrier
	s_waitcnt lgkmcnt(0)
	s_and_b64 exec, exec, vcc
	s_cbranch_execz .LBB0_15
; %bb.14:
	global_load_dwordx4 v[2:5], v198, s[8:9]
	ds_read_b128 v[6:9], v154
	v_mad_u64_u32 v[10:11], s[0:1], s6, v156, 0
	v_mov_b32_e32 v14, v11
	v_mad_u64_u32 v[12:13], s[2:3], s4, v222, 0
	v_mad_u64_u32 v[14:15], s[2:3], s7, v156, v[14:15]
	v_mov_b32_e32 v0, s12
	v_mov_b32_e32 v1, s13
	;; [unrolled: 1-line block ×4, first 2 shown]
	s_mov_b32 s0, 0x1ac5701b
	v_mad_u64_u32 v[16:17], s[2:3], s5, v222, v[16:17]
	v_lshl_add_u64 v[0:1], v[10:11], 4, v[0:1]
	s_mov_b32 s1, 0x3f5ac570
	v_mov_b32_e32 v13, v16
	v_lshl_add_u64 v[18:19], v[12:13], 4, v[0:1]
	s_mul_i32 s2, s5, 0x240
	v_mov_b32_e32 v199, 0
	s_movk_i32 s3, 0x1000
	s_waitcnt vmcnt(0) lgkmcnt(0)
	v_mul_f64 v[10:11], v[8:9], v[4:5]
	v_mul_f64 v[4:5], v[6:7], v[4:5]
	v_fmac_f64_e32 v[10:11], v[6:7], v[2:3]
	v_fma_f64 v[4:5], v[2:3], v[8:9], -v[4:5]
	v_mul_f64 v[2:3], v[10:11], s[0:1]
	v_mul_f64 v[4:5], v[4:5], s[0:1]
	global_store_dwordx4 v[18:19], v[2:5], off
	global_load_dwordx4 v[6:9], v198, s[8:9] offset:576
	ds_read_b128 v[10:13], v155 offset:576
	ds_read_b128 v[14:17], v155 offset:1152
	v_mov_b32_e32 v4, 0x240
	v_mad_u64_u32 v[2:3], s[6:7], s4, v4, v[18:19]
	v_add_u32_e32 v3, s2, v3
	s_waitcnt vmcnt(0) lgkmcnt(1)
	v_mul_f64 v[18:19], v[12:13], v[8:9]
	v_mul_f64 v[8:9], v[10:11], v[8:9]
	v_fmac_f64_e32 v[18:19], v[10:11], v[6:7]
	v_fma_f64 v[8:9], v[6:7], v[12:13], -v[8:9]
	v_mul_f64 v[6:7], v[18:19], s[0:1]
	v_mul_f64 v[8:9], v[8:9], s[0:1]
	global_store_dwordx4 v[2:3], v[6:9], off
	global_load_dwordx4 v[6:9], v198, s[8:9] offset:1152
	v_mad_u64_u32 v[2:3], s[6:7], s4, v4, v[2:3]
	v_add_u32_e32 v3, s2, v3
	s_waitcnt vmcnt(0) lgkmcnt(0)
	v_mul_f64 v[10:11], v[16:17], v[8:9]
	v_mul_f64 v[8:9], v[14:15], v[8:9]
	v_fmac_f64_e32 v[10:11], v[14:15], v[6:7]
	v_fma_f64 v[8:9], v[6:7], v[16:17], -v[8:9]
	v_mul_f64 v[6:7], v[10:11], s[0:1]
	v_mul_f64 v[8:9], v[8:9], s[0:1]
	global_store_dwordx4 v[2:3], v[6:9], off
	global_load_dwordx4 v[6:9], v198, s[8:9] offset:1728
	ds_read_b128 v[10:13], v155 offset:1728
	ds_read_b128 v[14:17], v155 offset:2304
	v_mad_u64_u32 v[2:3], s[6:7], s4, v4, v[2:3]
	v_add_u32_e32 v3, s2, v3
	s_waitcnt vmcnt(0) lgkmcnt(1)
	v_mul_f64 v[18:19], v[12:13], v[8:9]
	v_mul_f64 v[8:9], v[10:11], v[8:9]
	v_fmac_f64_e32 v[18:19], v[10:11], v[6:7]
	v_fma_f64 v[8:9], v[6:7], v[12:13], -v[8:9]
	v_mul_f64 v[6:7], v[18:19], s[0:1]
	v_mul_f64 v[8:9], v[8:9], s[0:1]
	global_store_dwordx4 v[2:3], v[6:9], off
	global_load_dwordx4 v[6:9], v198, s[8:9] offset:2304
	v_mad_u64_u32 v[2:3], s[6:7], s4, v4, v[2:3]
	v_add_u32_e32 v3, s2, v3
	s_waitcnt vmcnt(0) lgkmcnt(0)
	v_mul_f64 v[10:11], v[16:17], v[8:9]
	v_mul_f64 v[8:9], v[14:15], v[8:9]
	v_fmac_f64_e32 v[10:11], v[14:15], v[6:7]
	v_fma_f64 v[8:9], v[6:7], v[16:17], -v[8:9]
	v_mul_f64 v[6:7], v[10:11], s[0:1]
	v_mul_f64 v[8:9], v[8:9], s[0:1]
	global_store_dwordx4 v[2:3], v[6:9], off
	global_load_dwordx4 v[6:9], v198, s[8:9] offset:2880
	ds_read_b128 v[10:13], v155 offset:2880
	ds_read_b128 v[14:17], v155 offset:3456
	;; [unrolled: 24-line block ×3, first 2 shown]
	v_lshl_add_u64 v[2:3], s[8:9], 0, v[198:199]
	v_mad_u64_u32 v[18:19], s[6:7], s4, v4, v[18:19]
	v_add_co_u32_e32 v20, vcc, s3, v2
	v_add_u32_e32 v19, s2, v19
	s_nop 0
	v_addc_co_u32_e32 v21, vcc, 0, v3, vcc
	s_movk_i32 s3, 0x2000
	v_add_co_u32_e32 v2, vcc, s3, v2
	s_waitcnt vmcnt(0) lgkmcnt(1)
	v_mul_f64 v[22:23], v[12:13], v[8:9]
	v_mul_f64 v[8:9], v[10:11], v[8:9]
	v_fmac_f64_e32 v[22:23], v[10:11], v[6:7]
	v_fma_f64 v[8:9], v[6:7], v[12:13], -v[8:9]
	v_mul_f64 v[6:7], v[22:23], s[0:1]
	v_mul_f64 v[8:9], v[8:9], s[0:1]
	global_store_dwordx4 v[18:19], v[6:9], off
	global_load_dwordx4 v[6:9], v[20:21], off offset:512
	v_mad_u64_u32 v[18:19], s[6:7], s4, v4, v[18:19]
	v_add_u32_e32 v19, s2, v19
	v_addc_co_u32_e32 v3, vcc, 0, v3, vcc
	s_waitcnt vmcnt(0) lgkmcnt(0)
	v_mul_f64 v[10:11], v[16:17], v[8:9]
	v_mul_f64 v[8:9], v[14:15], v[8:9]
	v_fmac_f64_e32 v[10:11], v[14:15], v[6:7]
	v_fma_f64 v[8:9], v[6:7], v[16:17], -v[8:9]
	v_mul_f64 v[6:7], v[10:11], s[0:1]
	v_mul_f64 v[8:9], v[8:9], s[0:1]
	global_store_dwordx4 v[18:19], v[6:9], off
	global_load_dwordx4 v[6:9], v[20:21], off offset:1088
	ds_read_b128 v[10:13], v155 offset:5184
	ds_read_b128 v[14:17], v155 offset:5760
	v_mad_u64_u32 v[18:19], s[6:7], s4, v4, v[18:19]
	v_add_u32_e32 v19, s2, v19
	s_waitcnt vmcnt(0) lgkmcnt(1)
	v_mul_f64 v[22:23], v[12:13], v[8:9]
	v_mul_f64 v[8:9], v[10:11], v[8:9]
	v_fmac_f64_e32 v[22:23], v[10:11], v[6:7]
	v_fma_f64 v[8:9], v[6:7], v[12:13], -v[8:9]
	v_mul_f64 v[6:7], v[22:23], s[0:1]
	v_mul_f64 v[8:9], v[8:9], s[0:1]
	global_store_dwordx4 v[18:19], v[6:9], off
	global_load_dwordx4 v[6:9], v[20:21], off offset:1664
	v_mad_u64_u32 v[18:19], s[6:7], s4, v4, v[18:19]
	v_add_u32_e32 v19, s2, v19
	s_waitcnt vmcnt(0) lgkmcnt(0)
	v_mul_f64 v[10:11], v[16:17], v[8:9]
	v_mul_f64 v[8:9], v[14:15], v[8:9]
	v_fmac_f64_e32 v[10:11], v[14:15], v[6:7]
	v_fma_f64 v[8:9], v[6:7], v[16:17], -v[8:9]
	v_mul_f64 v[6:7], v[10:11], s[0:1]
	v_mul_f64 v[8:9], v[8:9], s[0:1]
	global_store_dwordx4 v[18:19], v[6:9], off
	global_load_dwordx4 v[6:9], v[20:21], off offset:2240
	ds_read_b128 v[10:13], v155 offset:6336
	ds_read_b128 v[14:17], v155 offset:6912
	v_mad_u64_u32 v[18:19], s[6:7], s4, v4, v[18:19]
	v_add_u32_e32 v19, s2, v19
	s_waitcnt vmcnt(0) lgkmcnt(1)
	v_mul_f64 v[22:23], v[12:13], v[8:9]
	v_mul_f64 v[8:9], v[10:11], v[8:9]
	v_fmac_f64_e32 v[22:23], v[10:11], v[6:7]
	v_fma_f64 v[8:9], v[6:7], v[12:13], -v[8:9]
	v_mul_f64 v[6:7], v[22:23], s[0:1]
	v_mul_f64 v[8:9], v[8:9], s[0:1]
	global_store_dwordx4 v[18:19], v[6:9], off
	global_load_dwordx4 v[6:9], v[20:21], off offset:2816
	v_mad_u64_u32 v[18:19], s[6:7], s4, v4, v[18:19]
	v_add_u32_e32 v19, s2, v19
	;; [unrolled: 24-line block ×3, first 2 shown]
	v_or_b32_e32 v20, 0x240, v222
	v_lshlrev_b32_e32 v21, 4, v20
	s_waitcnt vmcnt(0) lgkmcnt(0)
	v_mul_f64 v[10:11], v[16:17], v[8:9]
	v_mul_f64 v[8:9], v[14:15], v[8:9]
	v_fmac_f64_e32 v[10:11], v[14:15], v[6:7]
	v_fma_f64 v[8:9], v[6:7], v[16:17], -v[8:9]
	v_mul_f64 v[6:7], v[10:11], s[0:1]
	v_mul_f64 v[8:9], v[8:9], s[0:1]
	global_store_dwordx4 v[18:19], v[6:9], off
	global_load_dwordx4 v[6:9], v[2:3], off offset:448
	ds_read_b128 v[10:13], v155 offset:8640
	ds_read_b128 v[14:17], v155 offset:9216
	v_mad_u64_u32 v[18:19], s[6:7], s4, v4, v[18:19]
	v_add_u32_e32 v19, s2, v19
	s_waitcnt vmcnt(0) lgkmcnt(1)
	v_mul_f64 v[2:3], v[12:13], v[8:9]
	v_mul_f64 v[4:5], v[10:11], v[8:9]
	v_fmac_f64_e32 v[2:3], v[10:11], v[6:7]
	v_fma_f64 v[4:5], v[6:7], v[12:13], -v[4:5]
	v_mul_f64 v[2:3], v[2:3], s[0:1]
	v_mul_f64 v[4:5], v[4:5], s[0:1]
	global_store_dwordx4 v[18:19], v[2:5], off
	global_load_dwordx4 v[2:5], v21, s[8:9]
	v_mad_u64_u32 v[6:7], s[2:3], s4, v20, 0
	v_mov_b32_e32 v8, v7
	v_mad_u64_u32 v[8:9], s[2:3], s5, v20, v[8:9]
	v_mov_b32_e32 v7, v8
	v_lshl_add_u64 v[0:1], v[6:7], 4, v[0:1]
	s_waitcnt vmcnt(0) lgkmcnt(0)
	v_mul_f64 v[8:9], v[16:17], v[4:5]
	v_mul_f64 v[4:5], v[14:15], v[4:5]
	v_fmac_f64_e32 v[8:9], v[14:15], v[2:3]
	v_fma_f64 v[4:5], v[2:3], v[16:17], -v[4:5]
	v_mul_f64 v[2:3], v[8:9], s[0:1]
	v_mul_f64 v[4:5], v[4:5], s[0:1]
	global_store_dwordx4 v[0:1], v[2:5], off
.LBB0_15:
	s_endpgm
	.section	.rodata,"a",@progbits
	.p2align	6, 0x0
	.amdhsa_kernel bluestein_single_back_len612_dim1_dp_op_CI_CI
		.amdhsa_group_segment_fixed_size 9792
		.amdhsa_private_segment_fixed_size 0
		.amdhsa_kernarg_size 104
		.amdhsa_user_sgpr_count 2
		.amdhsa_user_sgpr_dispatch_ptr 0
		.amdhsa_user_sgpr_queue_ptr 0
		.amdhsa_user_sgpr_kernarg_segment_ptr 1
		.amdhsa_user_sgpr_dispatch_id 0
		.amdhsa_user_sgpr_kernarg_preload_length 0
		.amdhsa_user_sgpr_kernarg_preload_offset 0
		.amdhsa_user_sgpr_private_segment_size 0
		.amdhsa_uses_dynamic_stack 0
		.amdhsa_enable_private_segment 0
		.amdhsa_system_sgpr_workgroup_id_x 1
		.amdhsa_system_sgpr_workgroup_id_y 0
		.amdhsa_system_sgpr_workgroup_id_z 0
		.amdhsa_system_sgpr_workgroup_info 0
		.amdhsa_system_vgpr_workitem_id 0
		.amdhsa_next_free_vgpr 364
		.amdhsa_next_free_sgpr 60
		.amdhsa_accum_offset 256
		.amdhsa_reserve_vcc 1
		.amdhsa_float_round_mode_32 0
		.amdhsa_float_round_mode_16_64 0
		.amdhsa_float_denorm_mode_32 3
		.amdhsa_float_denorm_mode_16_64 3
		.amdhsa_dx10_clamp 1
		.amdhsa_ieee_mode 1
		.amdhsa_fp16_overflow 0
		.amdhsa_tg_split 0
		.amdhsa_exception_fp_ieee_invalid_op 0
		.amdhsa_exception_fp_denorm_src 0
		.amdhsa_exception_fp_ieee_div_zero 0
		.amdhsa_exception_fp_ieee_overflow 0
		.amdhsa_exception_fp_ieee_underflow 0
		.amdhsa_exception_fp_ieee_inexact 0
		.amdhsa_exception_int_div_zero 0
	.end_amdhsa_kernel
	.text
.Lfunc_end0:
	.size	bluestein_single_back_len612_dim1_dp_op_CI_CI, .Lfunc_end0-bluestein_single_back_len612_dim1_dp_op_CI_CI
                                        ; -- End function
	.section	.AMDGPU.csdata,"",@progbits
; Kernel info:
; codeLenInByte = 25236
; NumSgprs: 66
; NumVgprs: 256
; NumAgprs: 108
; TotalNumVgprs: 364
; ScratchSize: 0
; MemoryBound: 0
; FloatMode: 240
; IeeeMode: 1
; LDSByteSize: 9792 bytes/workgroup (compile time only)
; SGPRBlocks: 8
; VGPRBlocks: 45
; NumSGPRsForWavesPerEU: 66
; NumVGPRsForWavesPerEU: 364
; AccumOffset: 256
; Occupancy: 1
; WaveLimiterHint : 1
; COMPUTE_PGM_RSRC2:SCRATCH_EN: 0
; COMPUTE_PGM_RSRC2:USER_SGPR: 2
; COMPUTE_PGM_RSRC2:TRAP_HANDLER: 0
; COMPUTE_PGM_RSRC2:TGID_X_EN: 1
; COMPUTE_PGM_RSRC2:TGID_Y_EN: 0
; COMPUTE_PGM_RSRC2:TGID_Z_EN: 0
; COMPUTE_PGM_RSRC2:TIDIG_COMP_CNT: 0
; COMPUTE_PGM_RSRC3_GFX90A:ACCUM_OFFSET: 63
; COMPUTE_PGM_RSRC3_GFX90A:TG_SPLIT: 0
	.text
	.p2alignl 6, 3212836864
	.fill 256, 4, 3212836864
	.type	__hip_cuid_79c6dbe66b54a8fd,@object ; @__hip_cuid_79c6dbe66b54a8fd
	.section	.bss,"aw",@nobits
	.globl	__hip_cuid_79c6dbe66b54a8fd
__hip_cuid_79c6dbe66b54a8fd:
	.byte	0                               ; 0x0
	.size	__hip_cuid_79c6dbe66b54a8fd, 1

	.ident	"AMD clang version 19.0.0git (https://github.com/RadeonOpenCompute/llvm-project roc-6.4.0 25133 c7fe45cf4b819c5991fe208aaa96edf142730f1d)"
	.section	".note.GNU-stack","",@progbits
	.addrsig
	.addrsig_sym __hip_cuid_79c6dbe66b54a8fd
	.amdgpu_metadata
---
amdhsa.kernels:
  - .agpr_count:     108
    .args:
      - .actual_access:  read_only
        .address_space:  global
        .offset:         0
        .size:           8
        .value_kind:     global_buffer
      - .actual_access:  read_only
        .address_space:  global
        .offset:         8
        .size:           8
        .value_kind:     global_buffer
      - .actual_access:  read_only
        .address_space:  global
        .offset:         16
        .size:           8
        .value_kind:     global_buffer
      - .actual_access:  read_only
        .address_space:  global
        .offset:         24
        .size:           8
        .value_kind:     global_buffer
      - .actual_access:  read_only
        .address_space:  global
        .offset:         32
        .size:           8
        .value_kind:     global_buffer
      - .offset:         40
        .size:           8
        .value_kind:     by_value
      - .address_space:  global
        .offset:         48
        .size:           8
        .value_kind:     global_buffer
      - .address_space:  global
        .offset:         56
        .size:           8
        .value_kind:     global_buffer
      - .address_space:  global
        .offset:         64
        .size:           8
        .value_kind:     global_buffer
      - .address_space:  global
        .offset:         72
        .size:           8
        .value_kind:     global_buffer
      - .offset:         80
        .size:           4
        .value_kind:     by_value
      - .address_space:  global
        .offset:         88
        .size:           8
        .value_kind:     global_buffer
      - .address_space:  global
        .offset:         96
        .size:           8
        .value_kind:     global_buffer
    .group_segment_fixed_size: 9792
    .kernarg_segment_align: 8
    .kernarg_segment_size: 104
    .language:       OpenCL C
    .language_version:
      - 2
      - 0
    .max_flat_workgroup_size: 51
    .name:           bluestein_single_back_len612_dim1_dp_op_CI_CI
    .private_segment_fixed_size: 0
    .sgpr_count:     66
    .sgpr_spill_count: 0
    .symbol:         bluestein_single_back_len612_dim1_dp_op_CI_CI.kd
    .uniform_work_group_size: 1
    .uses_dynamic_stack: false
    .vgpr_count:     364
    .vgpr_spill_count: 0
    .wavefront_size: 64
amdhsa.target:   amdgcn-amd-amdhsa--gfx950
amdhsa.version:
  - 1
  - 2
...

	.end_amdgpu_metadata
